;; amdgpu-corpus repo=ROCm/rocFFT kind=compiled arch=gfx1030 opt=O3
	.text
	.amdgcn_target "amdgcn-amd-amdhsa--gfx1030"
	.amdhsa_code_object_version 6
	.protected	bluestein_single_back_len1088_dim1_sp_op_CI_CI ; -- Begin function bluestein_single_back_len1088_dim1_sp_op_CI_CI
	.globl	bluestein_single_back_len1088_dim1_sp_op_CI_CI
	.p2align	8
	.type	bluestein_single_back_len1088_dim1_sp_op_CI_CI,@function
bluestein_single_back_len1088_dim1_sp_op_CI_CI: ; @bluestein_single_back_len1088_dim1_sp_op_CI_CI
; %bb.0:
	s_load_dwordx4 s[0:3], s[4:5], 0x28
	v_mul_u32_u24_e32 v1, 0x3c4, v0
	v_lshrrev_b32_e32 v1, 16, v1
	v_mad_u64_u32 v[60:61], null, s6, 3, v[1:2]
	v_mov_b32_e32 v61, 0
                                        ; kill: def $vgpr2 killed $sgpr0 killed $exec
	s_waitcnt lgkmcnt(0)
	v_cmp_gt_u64_e32 vcc_lo, s[0:1], v[60:61]
	s_and_saveexec_b32 s0, vcc_lo
	s_cbranch_execz .LBB0_15
; %bb.1:
	v_mul_hi_u32 v2, 0xaaaaaaab, v60
	v_mul_lo_u16 v1, 0x44, v1
	s_clause 0x1
	s_load_dwordx2 s[12:13], s[4:5], 0x0
	s_load_dwordx2 s[14:15], s[4:5], 0x38
	v_sub_nc_u16 v0, v0, v1
	v_lshrrev_b32_e32 v1, 1, v2
	v_and_b32_e32 v137, 0xffff, v0
	v_cmp_gt_u16_e32 vcc_lo, 64, v0
	v_lshl_add_u32 v0, v1, 1, v1
	v_lshlrev_b32_e32 v133, 3, v137
	v_or_b32_e32 v135, 64, v137
	v_sub_nc_u32_e32 v0, v60, v0
	v_or_b32_e32 v134, 0x80, v137
	v_or_b32_e32 v132, 0xc0, v137
	;; [unrolled: 1-line block ×4, first 2 shown]
	v_mul_u32_u24_e32 v136, 0x440, v0
	v_or_b32_e32 v129, 0x180, v137
	v_or_b32_e32 v128, 0x1c0, v137
	;; [unrolled: 1-line block ×11, first 2 shown]
	v_lshlrev_b32_e32 v138, 3, v0
	v_or_b32_e32 v119, 0x400, v137
	s_and_saveexec_b32 s1, vcc_lo
	s_cbranch_execz .LBB0_3
; %bb.2:
	s_load_dwordx2 s[6:7], s[4:5], 0x18
	v_lshlrev_b32_e32 v37, 3, v128
	v_lshlrev_b32_e32 v32, 3, v129
	v_lshl_add_u32 v79, v136, 3, v133
	s_waitcnt lgkmcnt(0)
	s_load_dwordx4 s[8:11], s[6:7], 0x0
	s_clause 0x2
	global_load_dwordx2 v[0:1], v133, s[12:13]
	global_load_dwordx2 v[2:3], v133, s[12:13] offset:512
	global_load_dwordx2 v[4:5], v133, s[12:13] offset:1024
	s_waitcnt lgkmcnt(0)
	v_mad_u64_u32 v[6:7], null, s10, v60, 0
	v_mad_u64_u32 v[8:9], null, s8, v137, 0
	;; [unrolled: 1-line block ×9, first 2 shown]
	v_mov_b32_e32 v7, v22
	v_mad_u64_u32 v[18:19], null, s8, v130, 0
	v_mad_u64_u32 v[25:26], null, s9, v134, v[13:14]
	;; [unrolled: 1-line block ×3, first 2 shown]
	v_mov_b32_e32 v9, v23
	v_lshlrev_b64 v[6:7], 3, v[6:7]
	v_mad_u64_u32 v[26:27], null, s9, v132, v[15:16]
	v_mov_b32_e32 v11, v24
	v_mad_u64_u32 v[27:28], null, s9, v131, v[17:18]
	v_lshlrev_b64 v[8:9], 3, v[8:9]
	v_mov_b32_e32 v13, v25
	v_add_co_u32 v67, s0, s2, v6
	v_mad_u64_u32 v[28:29], null, s9, v130, v[19:20]
	v_lshlrev_b64 v[10:11], 3, v[10:11]
	v_add_co_ci_u32_e64 v68, s0, s3, v7, s0
	v_mov_b32_e32 v15, v26
	v_lshlrev_b64 v[12:13], 3, v[12:13]
	v_add_co_u32 v8, s0, v67, v8
	v_mov_b32_e32 v17, v27
	v_add_co_ci_u32_e64 v9, s0, v68, v9, s0
	v_lshlrev_b64 v[6:7], 3, v[14:15]
	v_add_co_u32 v10, s0, v67, v10
	v_mov_b32_e32 v19, v28
	v_add_co_ci_u32_e64 v11, s0, v68, v11, s0
	v_add_co_u32 v12, s0, v67, v12
	v_lshlrev_b64 v[14:15], 3, v[16:17]
	v_mad_u64_u32 v[29:30], null, s9, v129, v[21:22]
	v_mad_u64_u32 v[16:17], null, s8, v128, 0
	v_add_co_ci_u32_e64 v13, s0, v68, v13, s0
	v_add_co_u32 v6, s0, v67, v6
	v_lshlrev_b64 v[18:19], 3, v[18:19]
	v_add_co_ci_u32_e64 v7, s0, v68, v7, s0
	v_add_co_u32 v14, s0, v67, v14
	v_add_co_ci_u32_e64 v15, s0, v68, v15, s0
	v_mov_b32_e32 v21, v29
	v_mad_u64_u32 v[28:29], null, s9, v128, v[17:18]
	v_add_co_u32 v18, s0, v67, v18
	v_add_co_ci_u32_e64 v19, s0, v68, v19, s0
	v_lshlrev_b32_e32 v24, 3, v131
	v_lshlrev_b32_e32 v30, 3, v130
	s_clause 0x3
	global_load_dwordx2 v[8:9], v[8:9], off
	global_load_dwordx2 v[10:11], v[10:11], off
	;; [unrolled: 1-line block ×4, first 2 shown]
	global_load_dwordx2 v[22:23], v133, s[12:13] offset:1536
	global_load_dwordx2 v[14:15], v[14:15], off
	global_load_dwordx2 v[24:25], v24, s[12:13]
	global_load_dwordx2 v[18:19], v[18:19], off
	global_load_dwordx2 v[30:31], v30, s[12:13]
	v_mad_u64_u32 v[26:27], null, s8, v127, 0
	v_mov_b32_e32 v17, v28
	v_lshlrev_b64 v[20:21], 3, v[20:21]
	v_mad_u64_u32 v[47:48], null, s8, v123, 0
	v_mad_u64_u32 v[49:50], null, s8, v122, 0
	v_mad_u64_u32 v[27:28], null, s9, v127, v[27:28]
	v_lshlrev_b64 v[16:17], 3, v[16:17]
	v_add_co_u32 v20, s0, v67, v20
	v_add_co_ci_u32_e64 v21, s0, v68, v21, s0
	v_mad_u64_u32 v[28:29], null, s8, v126, 0
	v_lshlrev_b64 v[26:27], 3, v[26:27]
	v_add_co_u32 v16, s0, v67, v16
	v_add_co_ci_u32_e64 v17, s0, v68, v17, s0
	global_load_dwordx2 v[20:21], v[20:21], off
	global_load_dwordx2 v[32:33], v32, s[12:13]
	v_add_co_u32 v26, s0, v67, v26
	v_add_co_ci_u32_e64 v27, s0, v68, v27, s0
	global_load_dwordx2 v[16:17], v[16:17], off
	global_load_dwordx2 v[37:38], v37, s[12:13]
	global_load_dwordx2 v[26:27], v[26:27], off
	v_mad_u64_u32 v[56:57], null, s8, v121, 0
	v_mad_u64_u32 v[58:59], null, s8, v120, 0
	s_waitcnt vmcnt(13)
	v_mul_f32_e32 v73, v9, v1
	s_waitcnt vmcnt(12)
	v_mul_f32_e32 v75, v11, v3
	v_mul_f32_e32 v76, v10, v3
	s_waitcnt vmcnt(11)
	v_mul_f32_e32 v78, v12, v5
	s_waitcnt vmcnt(9)
	v_mul_f32_e32 v3, v7, v23
	v_mul_f32_e32 v80, v6, v23
	s_waitcnt vmcnt(5)
	v_mad_u64_u32 v[34:35], null, s9, v126, v[29:30]
	v_mad_u64_u32 v[35:36], null, s8, v125, 0
	v_mul_f32_e32 v81, v14, v25
	v_mul_f32_e32 v23, v19, v31
	;; [unrolled: 1-line block ×3, first 2 shown]
	v_fmac_f32_e32 v73, v8, v0
	v_mov_b32_e32 v29, v34
	v_fma_f32 v76, v11, v2, -v76
	v_mov_b32_e32 v34, v36
	v_fmac_f32_e32 v75, v10, v2
	v_fma_f32 v2, v13, v4, -v78
	v_lshlrev_b64 v[28:29], 3, v[28:29]
	v_fmac_f32_e32 v3, v6, v22
	v_mad_u64_u32 v[39:40], null, s9, v125, v[34:35]
	v_lshlrev_b32_e32 v34, 3, v127
	v_mad_u64_u32 v[40:41], null, s8, v124, 0
	v_add_co_u32 v28, s0, v67, v28
	global_load_dwordx2 v[42:43], v34, s[12:13]
	v_mov_b32_e32 v36, v39
	v_add_co_ci_u32_e64 v29, s0, v68, v29, s0
	v_mov_b32_e32 v34, v41
	v_lshlrev_b32_e32 v39, 3, v126
	v_lshlrev_b64 v[35:36], 3, v[35:36]
	global_load_dwordx2 v[28:29], v[28:29], off
	s_waitcnt vmcnt(5)
	v_mul_f32_e32 v77, v21, v33
	v_mul_f32_e32 v83, v20, v33
	s_waitcnt vmcnt(3)
	v_mul_f32_e32 v31, v17, v38
	v_mul_f32_e32 v84, v16, v38
	v_mad_u64_u32 v[44:45], null, s9, v124, v[34:35]
	v_add_co_u32 v34, s0, v67, v35
	v_add_co_ci_u32_e64 v35, s0, v68, v36, s0
	v_mov_b32_e32 v36, v48
	global_load_dwordx2 v[45:46], v39, s[12:13]
	v_mov_b32_e32 v41, v44
	v_lshlrev_b32_e32 v44, 3, v125
	global_load_dwordx2 v[34:35], v[34:35], off
	v_mad_u64_u32 v[51:52], null, s9, v123, v[36:37]
	v_mov_b32_e32 v36, v50
	global_load_dwordx2 v[52:53], v44, s[12:13]
	v_lshlrev_b64 v[39:40], 3, v[40:41]
	v_lshlrev_b32_e32 v41, 3, v124
	v_lshlrev_b32_e32 v44, 3, v123
	v_fma_f32 v6, v15, v24, -v81
	v_mov_b32_e32 v48, v51
	v_mad_u64_u32 v[50:51], null, s9, v122, v[36:37]
	v_add_co_u32 v39, s0, v67, v39
	v_add_co_ci_u32_e64 v40, s0, v68, v40, s0
	v_mov_b32_e32 v36, v57
	global_load_dwordx2 v[39:40], v[39:40], off
	global_load_dwordx2 v[54:55], v41, s[12:13]
	v_mov_b32_e32 v41, v59
	v_mad_u64_u32 v[61:62], null, s9, v121, v[36:37]
	v_lshlrev_b64 v[47:48], 3, v[47:48]
	v_lshlrev_b64 v[49:50], 3, v[49:50]
	global_load_dwordx2 v[65:66], v44, s[12:13]
	v_lshlrev_b32_e32 v44, 3, v119
	v_fmac_f32_e32 v23, v18, v30
	v_fma_f32 v78, v21, v32, -v83
	v_mov_b32_e32 v57, v61
	v_add_co_u32 v47, s0, v67, v47
	v_add_co_ci_u32_e64 v48, s0, v68, v48, s0
	v_lshlrev_b64 v[56:57], 3, v[56:57]
	v_add_co_u32 v49, s0, v67, v49
	v_add_co_ci_u32_e64 v50, s0, v68, v50, s0
	global_load_dwordx2 v[47:48], v[47:48], off
	v_add_co_u32 v56, s0, v67, v56
	global_load_dwordx2 v[49:50], v[49:50], off
	v_add_co_ci_u32_e64 v57, s0, v68, v57, s0
	v_fmac_f32_e32 v77, v20, v32
	v_fmac_f32_e32 v31, v16, v37
	v_fma_f32 v32, v17, v37, -v84
	s_waitcnt vmcnt(9)
	v_mad_u64_u32 v[62:63], null, s9, v120, v[41:42]
	v_mad_u64_u32 v[63:64], null, s8, v119, 0
	v_lshlrev_b32_e32 v41, 3, v121
	v_mul_f32_e32 v85, v26, v43
	v_mov_b32_e32 v59, v62
	v_mov_b32_e32 v36, v64
	v_lshlrev_b64 v[58:59], 3, v[58:59]
	v_mad_u64_u32 v[61:62], null, s9, v119, v[36:37]
	v_lshlrev_b32_e32 v36, 3, v122
	v_add_co_u32 v58, s0, v67, v58
	v_add_co_ci_u32_e64 v59, s0, v68, v59, s0
	v_mov_b32_e32 v64, v61
	s_waitcnt vmcnt(7)
	v_mul_f32_e32 v86, v28, v46
	s_waitcnt vmcnt(5)
	v_mul_f32_e32 v33, v35, v53
	v_mul_f32_e32 v87, v34, v53
	v_lshlrev_b64 v[61:62], 3, v[63:64]
	global_load_dwordx2 v[63:64], v36, s[12:13]
	global_load_dwordx2 v[56:57], v[56:57], off
	v_lshlrev_b32_e32 v36, 3, v120
	v_fma_f32 v37, v29, v45, -v86
	v_fmac_f32_e32 v33, v34, v52
	v_fma_f32 v34, v35, v52, -v87
	v_add_co_u32 v61, s0, v67, v61
	v_add_co_ci_u32_e64 v62, s0, v68, v62, s0
	global_load_dwordx2 v[67:68], v41, s[12:13]
	global_load_dwordx2 v[58:59], v[58:59], off
	s_clause 0x1
	global_load_dwordx2 v[69:70], v36, s[12:13]
	global_load_dwordx2 v[71:72], v44, s[12:13]
	global_load_dwordx2 v[61:62], v[61:62], off
	v_mul_f32_e32 v44, v8, v1
	v_mul_f32_e32 v1, v13, v5
	;; [unrolled: 1-line block ×5, first 2 shown]
	s_waitcnt vmcnt(10)
	v_mul_f32_e32 v38, v40, v55
	v_mul_f32_e32 v55, v39, v55
	v_fma_f32 v74, v9, v0, -v44
	v_fmac_f32_e32 v1, v12, v4
	v_fma_f32 v4, v7, v22, -v80
	v_fmac_f32_e32 v5, v14, v24
	;; [unrolled: 2-line block ×4, first 2 shown]
	v_fmac_f32_e32 v38, v39, v54
	v_fma_f32 v39, v40, v54, -v55
	s_waitcnt vmcnt(8)
	v_mul_f32_e32 v41, v48, v66
	v_mul_f32_e32 v66, v47, v66
	v_fmac_f32_e32 v41, v47, v65
	v_fma_f32 v42, v48, v65, -v66
	s_waitcnt vmcnt(6)
	v_mul_f32_e32 v43, v50, v64
	v_mul_f32_e32 v64, v49, v64
	v_fmac_f32_e32 v43, v49, v63
	s_waitcnt vmcnt(4)
	v_mul_f32_e32 v46, v57, v68
	v_mul_f32_e32 v68, v56, v68
	s_waitcnt vmcnt(2)
	v_mul_f32_e32 v51, v59, v70
	v_mul_f32_e32 v70, v58, v70
	;; [unrolled: 3-line block ×3, first 2 shown]
	v_fma_f32 v44, v50, v63, -v64
	v_fmac_f32_e32 v46, v56, v67
	v_fma_f32 v47, v57, v67, -v68
	v_fmac_f32_e32 v51, v58, v69
	;; [unrolled: 2-line block ×3, first 2 shown]
	v_fma_f32 v54, v62, v71, -v72
	ds_write_b64 v138, v[73:74]
	ds_write2st64_b64 v79, v[75:76], v[1:2] offset0:1 offset1:2
	ds_write2st64_b64 v79, v[3:4], v[5:6] offset0:3 offset1:4
	;; [unrolled: 1-line block ×8, first 2 shown]
.LBB0_3:
	s_or_b32 exec_lo, exec_lo, s1
	s_clause 0x1
	s_load_dwordx2 s[0:1], s[4:5], 0x20
	s_load_dwordx2 s[2:3], s[4:5], 0x8
	v_mov_b32_e32 v0, 0
	v_mov_b32_e32 v1, 0
	v_lshlrev_b32_e32 v139, 3, v136
	s_waitcnt lgkmcnt(0)
	s_barrier
	buffer_gl0_inv
                                        ; implicit-def: $vgpr12
                                        ; implicit-def: $vgpr4
                                        ; implicit-def: $vgpr10
                                        ; implicit-def: $vgpr18
                                        ; implicit-def: $vgpr22
                                        ; implicit-def: $vgpr26
                                        ; implicit-def: $vgpr30
                                        ; implicit-def: $vgpr34
	s_and_saveexec_b32 s4, vcc_lo
	s_cbranch_execz .LBB0_5
; %bb.4:
	v_lshl_add_u32 v2, v137, 3, v139
	ds_read_b64 v[0:1], v138
	ds_read2st64_b64 v[32:35], v2 offset0:1 offset1:2
	ds_read2st64_b64 v[28:31], v2 offset0:3 offset1:4
	;; [unrolled: 1-line block ×8, first 2 shown]
.LBB0_5:
	s_or_b32 exec_lo, exec_lo, s4
	s_waitcnt lgkmcnt(0)
	v_sub_f32_e32 v69, v33, v7
	v_sub_f32_e32 v73, v32, v6
	v_add_f32_e32 v36, v6, v32
	v_sub_f32_e32 v70, v35, v5
	v_add_f32_e32 v40, v7, v33
	v_mul_f32_e32 v52, 0xbeb8f4ab, v69
	v_mul_f32_e32 v56, 0xbeb8f4ab, v73
	v_add_f32_e32 v37, v4, v34
	v_sub_f32_e32 v76, v34, v4
	v_mul_f32_e32 v53, 0xbf2c7751, v70
	v_fmamk_f32 v2, v36, 0x3f6eb680, v52
	v_fma_f32 v3, 0x3f6eb680, v40, -v56
	v_add_f32_e32 v38, v5, v35
	v_mul_f32_e32 v59, 0xbf2c7751, v76
	v_sub_f32_e32 v71, v29, v11
	v_add_f32_e32 v2, v2, v0
	v_fmamk_f32 v41, v37, 0x3f3d2fb0, v53
	v_sub_f32_e32 v74, v28, v10
	v_add_f32_e32 v3, v3, v1
	v_fma_f32 v42, 0x3f3d2fb0, v38, -v59
	v_add_f32_e32 v39, v10, v28
	v_mul_f32_e32 v54, 0xbf65296c, v71
	v_add_f32_e32 v2, v41, v2
	v_add_f32_e32 v41, v11, v29
	v_mul_f32_e32 v63, 0xbf65296c, v74
	v_sub_f32_e32 v72, v31, v9
	v_add_f32_e32 v3, v42, v3
	v_fmamk_f32 v44, v39, 0x3ee437d1, v54
	v_sub_f32_e32 v77, v30, v8
	v_fma_f32 v45, 0x3ee437d1, v41, -v63
	v_add_f32_e32 v42, v8, v30
	v_mul_f32_e32 v55, 0xbf7ee86f, v72
	v_add_f32_e32 v43, v9, v31
	v_mul_f32_e32 v62, 0xbf7ee86f, v77
	v_add_f32_e32 v2, v44, v2
	v_add_f32_e32 v3, v45, v3
	v_sub_f32_e32 v75, v25, v15
	v_fmamk_f32 v45, v42, 0x3dbcf732, v55
	v_sub_f32_e32 v82, v24, v14
	v_fma_f32 v46, 0x3dbcf732, v43, -v62
	v_add_f32_e32 v44, v14, v24
	v_mul_f32_e32 v57, 0xbf763a35, v75
	v_add_f32_e32 v2, v45, v2
	v_add_f32_e32 v45, v15, v25
	v_mul_f32_e32 v65, 0xbf763a35, v82
	v_sub_f32_e32 v81, v27, v13
	v_add_f32_e32 v3, v46, v3
	v_fmamk_f32 v47, v44, 0xbe8c1d8e, v57
	v_sub_f32_e32 v84, v26, v12
	v_fma_f32 v49, 0xbe8c1d8e, v45, -v65
	v_add_f32_e32 v46, v12, v26
	v_mul_f32_e32 v58, 0xbf4c4adb, v81
	v_add_f32_e32 v48, v13, v27
	v_mul_f32_e32 v66, 0xbf4c4adb, v84
	v_add_f32_e32 v2, v47, v2
	v_add_f32_e32 v3, v49, v3
	v_sub_f32_e32 v78, v21, v19
	v_fmamk_f32 v49, v46, 0xbf1a4643, v58
	v_sub_f32_e32 v83, v20, v18
	v_fma_f32 v50, 0xbf1a4643, v48, -v66
	v_add_f32_e32 v47, v18, v20
	v_mul_f32_e32 v61, 0xbf06c442, v78
	v_add_f32_e32 v2, v49, v2
	v_add_f32_e32 v49, v19, v21
	v_mul_f32_e32 v67, 0xbf06c442, v83
	v_sub_f32_e32 v79, v23, v17
	v_sub_f32_e32 v80, v22, v16
	v_add_f32_e32 v3, v50, v3
	v_fmamk_f32 v85, v47, 0xbf59a7d5, v61
	v_fma_f32 v86, 0xbf59a7d5, v49, -v67
	v_add_f32_e32 v50, v16, v22
	v_add_f32_e32 v51, v17, v23
	v_mul_f32_e32 v64, 0xbe3c28d5, v79
	v_mul_f32_e32 v68, 0xbe3c28d5, v80
	v_add_f32_e32 v2, v85, v2
	v_add_f32_e32 v3, v86, v3
	v_fmamk_f32 v85, v50, 0xbf7ba420, v64
	v_fma_f32 v86, 0xbf7ba420, v51, -v68
	s_barrier
	buffer_gl0_inv
	v_add_f32_e32 v2, v85, v2
	v_add_f32_e32 v3, v86, v3
	s_and_saveexec_b32 s4, vcc_lo
	s_cbranch_execz .LBB0_7
; %bb.6:
	v_mul_f32_e32 v91, 0x3ee437d1, v40
	v_mul_f32_e32 v90, 0xbf1a4643, v38
	;; [unrolled: 1-line block ×5, first 2 shown]
	v_fmamk_f32 v92, v73, 0x3f65296c, v91
	v_fmamk_f32 v94, v76, 0x3f4c4adb, v90
	v_mul_f32_e32 v96, 0xbf4c4adb, v70
	v_fmamk_f32 v95, v36, 0x3ee437d1, v97
	v_fmamk_f32 v98, v74, 0xbe3c28d5, v89
	v_add_f32_e32 v92, v92, v1
	v_mul_f32_e32 v87, 0x3f3d2fb0, v45
	v_mul_f32_e32 v93, 0x3e3c28d5, v71
	v_fmamk_f32 v99, v37, 0xbf1a4643, v96
	v_fmamk_f32 v100, v77, 0xbf763a35, v88
	v_add_f32_e32 v92, v94, v92
	v_add_f32_e32 v101, v95, v0
	v_mul_f32_e32 v86, 0x3f6eb680, v48
	v_mul_f32_e32 v94, 0x3f763a35, v72
	v_fmamk_f32 v102, v39, 0xbf7ba420, v93
	v_add_f32_e32 v92, v98, v92
	v_fmamk_f32 v103, v82, 0xbf2c7751, v87
	v_add_f32_e32 v99, v99, v101
	v_mul_f32_e32 v85, 0x3dbcf732, v49
	v_mul_f32_e32 v95, 0x3f2c7751, v75
	v_add_f32_e32 v92, v100, v92
	v_fmamk_f32 v101, v42, 0xbe8c1d8e, v94
	v_fmamk_f32 v104, v84, 0x3eb8f4ab, v86
	v_add_f32_e32 v102, v102, v99
	v_add_f32_e32 v33, v33, v1
	;; [unrolled: 1-line block ×3, first 2 shown]
	v_fmamk_f32 v99, v44, 0x3f3d2fb0, v95
	v_fmamk_f32 v100, v83, 0x3f7ee86f, v85
	v_add_f32_e32 v102, v101, v102
	v_add_f32_e32 v32, v32, v0
	;; [unrolled: 1-line block ×3, first 2 shown]
	v_mul_f32_e32 v104, 0x3dbcf732, v40
	v_add_f32_e32 v33, v35, v33
	v_mul_f32_e32 v98, 0xbeb8f4ab, v81
	v_add_f32_e32 v99, v99, v102
	v_add_f32_e32 v102, v100, v101
	;; [unrolled: 1-line block ×3, first 2 shown]
	v_fmamk_f32 v35, v73, 0x3f7ee86f, v104
	v_mul_f32_e32 v100, 0xbf7ba420, v38
	v_add_f32_e32 v29, v29, v33
	v_mul_f32_e32 v92, 0xbf7ee86f, v78
	v_fmamk_f32 v103, v46, 0x3f6eb680, v98
	v_add_f32_e32 v28, v28, v32
	v_add_f32_e32 v32, v35, v1
	v_fmamk_f32 v33, v76, 0x3e3c28d5, v100
	v_mul_f32_e32 v101, 0xbe8c1d8e, v41
	v_add_f32_e32 v31, v31, v29
	v_mul_f32_e32 v109, 0xbf7ee86f, v69
	v_mul_f32_e32 v34, 0xbf59a7d5, v51
	v_add_f32_e32 v99, v103, v99
	v_fmamk_f32 v105, v47, 0x3dbcf732, v92
	v_mul_f32_e32 v35, 0xbf06c442, v79
	v_add_f32_e32 v30, v30, v28
	v_add_f32_e32 v28, v33, v32
	v_fmamk_f32 v29, v74, 0xbf763a35, v101
	v_mul_f32_e32 v103, 0x3f6eb680, v43
	v_add_f32_e32 v25, v25, v31
	v_fmamk_f32 v31, v36, 0x3dbcf732, v109
	v_mul_f32_e32 v111, 0xbe3c28d5, v70
	v_fmamk_f32 v32, v80, 0x3f06c442, v34
	v_add_f32_e32 v33, v105, v99
	v_fmamk_f32 v99, v50, 0xbf59a7d5, v35
	v_add_f32_e32 v106, v29, v28
	v_fmamk_f32 v107, v77, 0xbeb8f4ab, v103
	v_mul_f32_e32 v105, 0x3ee437d1, v45
	v_add_f32_e32 v24, v24, v30
	v_add_f32_e32 v25, v27, v25
	;; [unrolled: 1-line block ×3, first 2 shown]
	v_fmamk_f32 v31, v37, 0xbf7ba420, v111
	v_mul_f32_e32 v112, 0x3f763a35, v71
	v_add_f32_e32 v29, v32, v102
	v_add_f32_e32 v28, v99, v33
	;; [unrolled: 1-line block ×3, first 2 shown]
	v_fmamk_f32 v33, v82, 0x3f65296c, v105
	v_add_f32_e32 v24, v26, v24
	v_mul_f32_e32 v102, 0xbf59a7d5, v48
	v_add_f32_e32 v21, v21, v25
	v_add_f32_e32 v25, v31, v27
	v_fmamk_f32 v26, v39, 0xbe8c1d8e, v112
	v_mul_f32_e32 v113, 0x3eb8f4ab, v72
	v_add_f32_e32 v30, v33, v32
	v_add_f32_e32 v20, v20, v24
	v_fmamk_f32 v24, v84, 0x3f06c442, v102
	v_mul_f32_e32 v99, 0xbf1a4643, v49
	v_add_f32_e32 v25, v26, v25
	v_fmamk_f32 v26, v42, 0x3f6eb680, v113
	v_mul_f32_e32 v110, 0xbf65296c, v75
	v_add_f32_e32 v32, v23, v21
	v_add_f32_e32 v21, v24, v30
	v_fmamk_f32 v23, v83, 0xbf4c4adb, v99
	v_add_f32_e32 v24, v26, v25
	v_fmamk_f32 v25, v44, 0x3ee437d1, v110
	v_mul_f32_e32 v107, 0xbf06c442, v81
	v_mul_f32_e32 v117, 0xbe8c1d8e, v40
	v_add_f32_e32 v33, v22, v20
	v_add_f32_e32 v20, v23, v21
	;; [unrolled: 1-line block ×3, first 2 shown]
	v_fmamk_f32 v22, v46, 0xbf59a7d5, v107
	v_mul_f32_e32 v108, 0x3f4c4adb, v78
	v_mul_f32_e32 v106, 0x3f3d2fb0, v51
	v_fmamk_f32 v23, v73, 0x3f763a35, v117
	v_mul_f32_e32 v118, 0xbf59a7d5, v38
	v_add_f32_e32 v21, v22, v21
	v_fmamk_f32 v22, v47, 0xbf1a4643, v108
	v_fmamk_f32 v24, v80, 0xbf2c7751, v106
	v_add_f32_e32 v23, v23, v1
	v_fmamk_f32 v25, v76, 0xbf06c442, v118
	v_mul_f32_e32 v140, 0x3f3d2fb0, v41
	v_mul_f32_e32 v141, 0xbf763a35, v69
	v_add_f32_e32 v22, v22, v21
	v_add_f32_e32 v21, v24, v20
	;; [unrolled: 1-line block ×3, first 2 shown]
	v_fmamk_f32 v23, v74, 0xbf2c7751, v140
	v_mul_f32_e32 v142, 0x3ee437d1, v43
	v_fmamk_f32 v24, v36, 0xbe8c1d8e, v141
	v_mul_f32_e32 v143, 0x3f06c442, v70
	v_mul_f32_e32 v144, 0xbf7ba420, v45
	v_add_f32_e32 v20, v23, v20
	v_fmamk_f32 v23, v77, 0x3f65296c, v142
	v_add_f32_e32 v24, v24, v0
	v_fmamk_f32 v25, v37, 0xbf59a7d5, v143
	v_mul_f32_e32 v145, 0x3f2c7751, v71
	v_mul_f32_e32 v146, 0x3dbcf732, v48
	v_add_f32_e32 v20, v23, v20
	v_fmamk_f32 v23, v82, 0x3e3c28d5, v144
	v_add_f32_e32 v24, v25, v24
	v_fmamk_f32 v25, v39, 0x3f3d2fb0, v145
	v_mul_f32_e32 v147, 0xbf65296c, v72
	v_mul_f32_e32 v114, 0x3f2c7751, v79
	v_add_f32_e32 v20, v23, v20
	v_fmamk_f32 v23, v84, 0xbf7ee86f, v146
	v_mul_f32_e32 v148, 0x3f6eb680, v49
	v_add_f32_e32 v24, v25, v24
	v_fmamk_f32 v25, v42, 0x3ee437d1, v147
	v_mul_f32_e32 v149, 0xbe3c28d5, v75
	v_fmamk_f32 v26, v50, 0x3f3d2fb0, v114
	v_add_f32_e32 v23, v23, v20
	v_fmamk_f32 v27, v83, 0x3eb8f4ab, v148
	v_add_f32_e32 v24, v25, v24
	v_fmamk_f32 v25, v44, 0xbf7ba420, v149
	v_mul_f32_e32 v150, 0x3f7ee86f, v81
	v_mul_f32_e32 v30, 0xbf59a7d5, v40
	v_add_f32_e32 v20, v26, v22
	v_add_f32_e32 v22, v27, v23
	v_add_f32_e32 v23, v25, v24
	v_fmamk_f32 v24, v46, 0x3dbcf732, v150
	v_mul_f32_e32 v151, 0xbeb8f4ab, v78
	v_mul_f32_e32 v152, 0xbf1a4643, v51
	v_fmamk_f32 v25, v73, 0x3f06c442, v30
	v_mul_f32_e32 v31, 0x3ee437d1, v38
	v_add_f32_e32 v23, v24, v23
	v_fmamk_f32 v24, v47, 0x3f6eb680, v151
	v_fmamk_f32 v26, v80, 0x3f4c4adb, v152
	v_add_f32_e32 v25, v25, v1
	v_fmamk_f32 v27, v76, 0xbf65296c, v31
	v_mul_f32_e32 v115, 0x3dbcf732, v41
	v_mul_f32_e32 v116, 0xbf06c442, v69
	v_add_f32_e32 v24, v24, v23
	v_add_f32_e32 v23, v26, v22
	;; [unrolled: 1-line block ×3, first 2 shown]
	v_fmamk_f32 v25, v74, 0x3f7ee86f, v115
	v_mul_f32_e32 v153, 0xbf1a4643, v43
	v_fmamk_f32 v26, v36, 0xbf59a7d5, v116
	v_mul_f32_e32 v155, 0x3f65296c, v70
	v_mul_f32_e32 v156, 0x3f6eb680, v45
	v_add_f32_e32 v22, v25, v22
	v_fmamk_f32 v25, v77, 0xbf4c4adb, v153
	v_add_f32_e32 v26, v26, v0
	v_fmamk_f32 v27, v37, 0x3ee437d1, v155
	v_mul_f32_e32 v157, 0xbf7ee86f, v71
	v_mul_f32_e32 v158, 0xbf7ba420, v48
	v_add_f32_e32 v22, v25, v22
	v_fmamk_f32 v25, v82, 0x3eb8f4ab, v156
	v_add_f32_e32 v26, v27, v26
	v_fmamk_f32 v27, v39, 0x3dbcf732, v157
	v_mul_f32_e32 v159, 0x3f4c4adb, v72
	v_mul_f32_e32 v154, 0xbf4c4adb, v79
	v_add_f32_e32 v22, v25, v22
	v_fmamk_f32 v25, v84, 0x3e3c28d5, v158
	v_mul_f32_e32 v160, 0x3f3d2fb0, v49
	v_add_f32_e32 v26, v27, v26
	v_fmamk_f32 v27, v42, 0xbf1a4643, v159
	v_mul_f32_e32 v161, 0xbeb8f4ab, v75
	v_fmamk_f32 v162, v50, 0xbf1a4643, v154
	v_add_f32_e32 v25, v25, v22
	v_fmamk_f32 v163, v83, 0xbf2c7751, v160
	v_add_f32_e32 v26, v27, v26
	v_fmamk_f32 v27, v44, 0x3f6eb680, v161
	v_mul_f32_e32 v164, 0xbe3c28d5, v81
	v_add_f32_e32 v22, v162, v24
	v_add_f32_e32 v24, v163, v25
	v_mul_f32_e32 v162, 0xbf7ba420, v40
	v_add_f32_e32 v25, v27, v26
	v_fmamk_f32 v26, v46, 0xbf7ba420, v164
	v_mul_f32_e32 v163, 0x3f2c7751, v78
	v_mul_f32_e32 v165, 0xbe8c1d8e, v51
	v_fmamk_f32 v27, v73, 0x3e3c28d5, v162
	v_mul_f32_e32 v166, 0x3f6eb680, v38
	v_add_f32_e32 v25, v26, v25
	v_fmamk_f32 v26, v47, 0x3f3d2fb0, v163
	v_fmamk_f32 v167, v80, 0x3f763a35, v165
	v_add_f32_e32 v27, v27, v1
	v_fmamk_f32 v168, v76, 0xbeb8f4ab, v166
	v_mul_f32_e32 v169, 0xbf59a7d5, v41
	v_add_f32_e32 v26, v26, v25
	v_add_f32_e32 v25, v167, v24
	v_mul_f32_e32 v167, 0xbe3c28d5, v69
	v_add_f32_e32 v24, v168, v27
	v_fmamk_f32 v27, v74, 0x3f06c442, v169
	v_mul_f32_e32 v168, 0x3f3d2fb0, v43
	v_mul_f32_e32 v172, 0x3eb8f4ab, v70
	v_fmamk_f32 v171, v36, 0xbf7ba420, v167
	v_mul_f32_e32 v173, 0xbf1a4643, v45
	v_add_f32_e32 v24, v27, v24
	v_fmamk_f32 v27, v77, 0xbf2c7751, v168
	v_fmamk_f32 v174, v37, 0x3f6eb680, v172
	v_add_f32_e32 v171, v171, v0
	v_mul_f32_e32 v175, 0xbf06c442, v71
	v_mul_f32_e32 v170, 0xbf763a35, v79
	v_add_f32_e32 v24, v27, v24
	v_fmamk_f32 v27, v82, 0x3f4c4adb, v173
	v_mul_f32_e32 v176, 0x3ee437d1, v48
	v_add_f32_e32 v171, v174, v171
	v_fmamk_f32 v174, v39, 0xbf59a7d5, v175
	v_mul_f32_e32 v177, 0x3f2c7751, v72
	v_fmamk_f32 v178, v50, 0xbe8c1d8e, v170
	v_add_f32_e32 v27, v27, v24
	v_fmamk_f32 v179, v84, 0xbf65296c, v176
	v_add_f32_e32 v171, v174, v171
	v_fmamk_f32 v174, v42, 0x3f3d2fb0, v177
	v_mul_f32_e32 v180, 0xbf4c4adb, v75
	v_add_f32_e32 v24, v178, v26
	v_add_f32_e32 v26, v179, v27
	v_fmac_f32_e32 v162, 0xbe3c28d5, v73
	v_add_f32_e32 v27, v174, v171
	v_fmamk_f32 v171, v44, 0xbf1a4643, v180
	v_mul_f32_e32 v174, 0x3f65296c, v81
	v_fmac_f32_e32 v166, 0x3eb8f4ab, v76
	v_add_f32_e32 v162, v162, v1
	v_mul_f32_e32 v179, 0xbf763a35, v78
	v_add_f32_e32 v27, v171, v27
	v_fmamk_f32 v171, v46, 0x3ee437d1, v174
	v_mul_f32_e32 v178, 0xbe8c1d8e, v49
	v_add_f32_e32 v162, v166, v162
	v_fmac_f32_e32 v169, 0xbf06c442, v74
	v_fmamk_f32 v166, v47, 0xbe8c1d8e, v179
	v_add_f32_e32 v27, v171, v27
	v_fma_f32 v167, 0xbf7ba420, v36, -v167
	v_fmamk_f32 v181, v83, 0x3f763a35, v178
	v_add_f32_e32 v162, v169, v162
	v_fmac_f32_e32 v168, 0x3f2c7751, v77
	v_add_f32_e32 v166, v166, v27
	v_mul_f32_e32 v169, 0x3dbcf732, v51
	v_add_f32_e32 v27, v167, v0
	v_fma_f32 v167, 0x3f6eb680, v37, -v172
	v_add_f32_e32 v26, v181, v26
	v_add_f32_e32 v162, v168, v162
	v_fmamk_f32 v168, v80, 0xbf7ee86f, v169
	v_mul_f32_e32 v171, 0x3f7ee86f, v79
	v_add_f32_e32 v167, v167, v27
	v_fma_f32 v172, 0xbf59a7d5, v39, -v175
	v_fmac_f32_e32 v30, 0xbf06c442, v73
	v_add_f32_e32 v27, v168, v26
	v_fmamk_f32 v26, v50, 0x3dbcf732, v171
	v_fma_f32 v168, 0x3f3d2fb0, v42, -v177
	v_add_f32_e32 v167, v172, v167
	v_fma_f32 v116, 0xbf59a7d5, v36, -v116
	v_add_f32_e32 v30, v30, v1
	v_add_f32_e32 v26, v26, v166
	v_fmac_f32_e32 v31, 0x3f65296c, v76
	v_add_f32_e32 v166, v168, v167
	v_fma_f32 v167, 0xbf1a4643, v44, -v180
	v_add_f32_e32 v116, v116, v0
	v_fma_f32 v155, 0x3ee437d1, v37, -v155
	v_add_f32_e32 v30, v31, v30
	v_fmac_f32_e32 v115, 0xbf7ee86f, v74
	v_add_f32_e32 v166, v167, v166
	v_fma_f32 v167, 0x3ee437d1, v46, -v174
	v_add_f32_e32 v116, v155, v116
	v_fma_f32 v155, 0x3dbcf732, v39, -v157
	v_add_f32_e32 v30, v115, v30
	v_fmac_f32_e32 v153, 0x3f4c4adb, v77
	v_add_f32_e32 v31, v167, v166
	v_fma_f32 v166, 0xbe8c1d8e, v47, -v179
	v_fmac_f32_e32 v173, 0xbf4c4adb, v82
	v_add_f32_e32 v116, v155, v116
	v_fma_f32 v155, 0xbf1a4643, v42, -v159
	v_add_f32_e32 v30, v153, v30
	v_add_f32_e32 v115, v166, v31
	v_fmac_f32_e32 v156, 0xbeb8f4ab, v82
	v_fma_f32 v153, 0x3dbcf732, v50, -v171
	v_add_f32_e32 v162, v173, v162
	v_fmac_f32_e32 v176, 0x3f65296c, v84
	v_add_f32_e32 v116, v155, v116
	v_fma_f32 v155, 0x3f6eb680, v44, -v161
	v_add_f32_e32 v156, v156, v30
	v_fmac_f32_e32 v158, 0xbe3c28d5, v84
	v_add_f32_e32 v30, v153, v115
	v_mul_f32_e32 v153, 0xbf4c4adb, v73
	v_add_f32_e32 v162, v176, v162
	v_fmac_f32_e32 v178, 0xbf763a35, v83
	v_add_f32_e32 v115, v155, v116
	v_fma_f32 v116, 0xbf7ba420, v46, -v164
	v_add_f32_e32 v155, v158, v156
	v_fmac_f32_e32 v160, 0x3f2c7751, v83
	v_fmamk_f32 v156, v40, 0xbf1a4643, v153
	v_mul_f32_e32 v157, 0x3f763a35, v76
	v_add_f32_e32 v162, v178, v162
	v_fmac_f32_e32 v169, 0x3f7ee86f, v80
	v_add_f32_e32 v115, v116, v115
	v_fma_f32 v116, 0x3f3d2fb0, v47, -v163
	v_add_f32_e32 v155, v160, v155
	v_add_f32_e32 v156, v156, v1
	v_fmamk_f32 v158, v38, 0xbe8c1d8e, v157
	v_mul_f32_e32 v159, 0xbeb8f4ab, v74
	v_mul_f32_e32 v160, 0xbf4c4adb, v69
	v_add_f32_e32 v31, v169, v162
	v_add_f32_e32 v115, v116, v115
	;; [unrolled: 1-line block ×3, first 2 shown]
	v_fmamk_f32 v156, v41, 0x3f6eb680, v159
	v_mul_f32_e32 v158, 0xbf06c442, v77
	v_fma_f32 v162, 0xbf1a4643, v36, -v160
	v_mul_f32_e32 v163, 0x3f763a35, v70
	v_mul_f32_e32 v164, 0x3f7ee86f, v82
	v_add_f32_e32 v116, v156, v116
	v_fmamk_f32 v156, v43, 0xbf59a7d5, v158
	v_add_f32_e32 v162, v162, v0
	v_fma_f32 v166, 0xbe8c1d8e, v37, -v163
	v_mul_f32_e32 v167, 0xbeb8f4ab, v71
	v_mul_f32_e32 v168, 0xbf2c7751, v84
	v_add_f32_e32 v116, v156, v116
	v_fmamk_f32 v156, v45, 0x3dbcf732, v164
	v_add_f32_e32 v162, v166, v162
	v_fma_f32 v166, 0x3f6eb680, v39, -v167
	v_mul_f32_e32 v169, 0xbf06c442, v72
	v_fmac_f32_e32 v165, 0xbf763a35, v80
	v_fma_f32 v161, 0xbe8c1d8e, v50, -v170
	v_add_f32_e32 v156, v156, v116
	v_fmamk_f32 v170, v48, 0x3f3d2fb0, v168
	v_mul_f32_e32 v171, 0xbe3c28d5, v83
	v_add_f32_e32 v162, v166, v162
	v_fma_f32 v166, 0xbf59a7d5, v42, -v169
	v_mul_f32_e32 v172, 0x3f7ee86f, v75
	v_add_f32_e32 v116, v165, v155
	v_add_f32_e32 v155, v170, v156
	v_fmamk_f32 v156, v49, 0xbf7ba420, v171
	v_add_f32_e32 v162, v166, v162
	v_fma_f32 v165, 0x3dbcf732, v44, -v172
	v_mul_f32_e32 v166, 0xbf2c7751, v81
	v_fmac_f32_e32 v117, 0xbf763a35, v73
	v_add_f32_e32 v115, v161, v115
	v_add_f32_e32 v155, v156, v155
	;; [unrolled: 1-line block ×3, first 2 shown]
	v_fma_f32 v161, 0x3f3d2fb0, v46, -v166
	v_mul_f32_e32 v162, 0xbe3c28d5, v78
	v_fma_f32 v141, 0xbe8c1d8e, v36, -v141
	v_add_f32_e32 v117, v117, v1
	v_fmac_f32_e32 v118, 0x3f06c442, v76
	v_add_f32_e32 v156, v161, v156
	v_fma_f32 v161, 0xbf7ba420, v47, -v162
	v_add_f32_e32 v141, v141, v0
	v_fma_f32 v143, 0xbf59a7d5, v37, -v143
	v_add_f32_e32 v117, v118, v117
	v_fmac_f32_e32 v140, 0x3f2c7751, v74
	v_add_f32_e32 v156, v161, v156
	v_mul_f32_e32 v161, 0x3f65296c, v80
	v_add_f32_e32 v118, v143, v141
	v_fma_f32 v141, 0x3f3d2fb0, v39, -v145
	v_add_f32_e32 v117, v140, v117
	v_fmac_f32_e32 v142, 0xbf65296c, v77
	v_fmamk_f32 v140, v51, 0x3ee437d1, v161
	v_mul_f32_e32 v143, 0x3f65296c, v79
	v_add_f32_e32 v141, v141, v118
	v_fma_f32 v145, 0x3ee437d1, v42, -v147
	v_add_f32_e32 v117, v142, v117
	v_fmac_f32_e32 v144, 0xbe3c28d5, v82
	v_fmac_f32_e32 v104, 0xbf7ee86f, v73
	v_add_f32_e32 v118, v140, v155
	v_fma_f32 v140, 0x3ee437d1, v50, -v143
	v_add_f32_e32 v141, v145, v141
	v_fma_f32 v142, 0xbf7ba420, v44, -v149
	v_add_f32_e32 v144, v144, v117
	v_fmac_f32_e32 v146, 0x3f7ee86f, v84
	v_add_f32_e32 v104, v104, v1
	v_fmac_f32_e32 v100, 0xbe3c28d5, v76
	v_fma_f32 v109, 0x3dbcf732, v36, -v109
	v_add_f32_e32 v117, v140, v156
	v_add_f32_e32 v140, v142, v141
	;; [unrolled: 1-line block ×3, first 2 shown]
	v_fmac_f32_e32 v148, 0xbeb8f4ab, v83
	v_add_f32_e32 v100, v100, v104
	v_fmac_f32_e32 v101, 0x3f763a35, v74
	v_add_f32_e32 v109, v109, v0
	v_fma_f32 v111, 0xbf7ba420, v37, -v111
	v_add_f32_e32 v104, v148, v142
	v_fmac_f32_e32 v103, 0x3eb8f4ab, v77
	v_add_f32_e32 v100, v101, v100
	v_fmac_f32_e32 v152, 0xbf4c4adb, v80
	v_add_f32_e32 v109, v111, v109
	v_fma_f32 v111, 0xbe8c1d8e, v39, -v112
	v_fmac_f32_e32 v91, 0xbf65296c, v73
	v_add_f32_e32 v103, v103, v100
	v_fmac_f32_e32 v105, 0xbf65296c, v82
	v_add_f32_e32 v101, v152, v104
	v_add_f32_e32 v104, v111, v109
	v_fma_f32 v109, 0x3f6eb680, v42, -v113
	v_fma_f32 v97, 0x3ee437d1, v36, -v97
	v_add_f32_e32 v91, v91, v1
	v_fmac_f32_e32 v90, 0xbf4c4adb, v76
	v_add_f32_e32 v103, v105, v103
	v_fmac_f32_e32 v102, 0xbf06c442, v84
	v_add_f32_e32 v104, v109, v104
	v_fma_f32 v105, 0x3ee437d1, v44, -v110
	v_add_f32_e32 v97, v97, v0
	v_fma_f32 v96, 0xbf1a4643, v37, -v96
	v_add_f32_e32 v90, v90, v91
	v_fmac_f32_e32 v89, 0x3e3c28d5, v74
	v_add_f32_e32 v102, v102, v103
	v_add_f32_e32 v103, v105, v104
	v_fma_f32 v104, 0xbf59a7d5, v46, -v107
	v_add_f32_e32 v91, v96, v97
	v_fma_f32 v93, 0xbf7ba420, v39, -v93
	v_add_f32_e32 v89, v89, v90
	v_fmac_f32_e32 v88, 0x3f763a35, v77
	v_add_f32_e32 v96, v104, v103
	v_fma_f32 v90, 0xbf1a4643, v47, -v108
	v_add_f32_e32 v91, v93, v91
	v_fma_f32 v93, 0xbe8c1d8e, v42, -v94
	v_add_f32_e32 v88, v88, v89
	v_fmac_f32_e32 v87, 0x3f2c7751, v82
	v_add_f32_e32 v89, v90, v96
	v_fmac_f32_e32 v86, 0xbeb8f4ab, v84
	v_add_f32_e32 v90, v93, v91
	v_fma_f32 v91, 0x3f3d2fb0, v44, -v95
	v_add_f32_e32 v88, v87, v88
	v_fmac_f32_e32 v85, 0xbf7ee86f, v83
	v_mul_f32_e32 v73, 0xbf2c7751, v73
	v_fma_f32 v93, 0x3f3d2fb0, v50, -v114
	v_add_f32_e32 v90, v91, v90
	v_fma_f32 v91, 0x3f6eb680, v46, -v98
	v_add_f32_e32 v88, v86, v88
	v_mul_f32_e32 v76, 0xbf7ee86f, v76
	v_add_f32_e32 v86, v93, v89
	v_mul_f32_e32 v74, 0xbf4c4adb, v74
	v_add_f32_e32 v90, v91, v90
	v_fma_f32 v91, 0x3dbcf732, v47, -v92
	v_add_f32_e32 v85, v85, v88
	v_fmamk_f32 v88, v40, 0x3f3d2fb0, v73
	v_mul_f32_e32 v69, 0xbf2c7751, v69
	v_mul_f32_e32 v77, 0xbe3c28d5, v77
	v_add_f32_e32 v89, v91, v90
	v_fmamk_f32 v90, v38, 0x3dbcf732, v76
	v_add_f32_e32 v88, v88, v1
	v_fma_f32 v91, 0xbf59a7d5, v50, -v35
	v_fma_f32 v35, 0x3f3d2fb0, v36, -v69
	v_mul_f32_e32 v70, 0xbf7ee86f, v70
	v_mul_f32_e32 v82, 0x3f06c442, v82
	v_add_f32_e32 v88, v90, v88
	v_fmamk_f32 v90, v41, 0xbf1a4643, v74
	v_add_f32_e32 v35, v35, v0
	v_fma_f32 v92, 0x3dbcf732, v37, -v70
	v_mul_f32_e32 v71, 0xbf4c4adb, v71
	v_mul_f32_e32 v84, 0x3f763a35, v84
	v_add_f32_e32 v88, v90, v88
	v_fmamk_f32 v90, v43, 0xbf7ba420, v77
	v_add_f32_e32 v17, v17, v32
	v_add_f32_e32 v16, v16, v33
	v_add_f32_e32 v35, v92, v35
	v_fma_f32 v92, 0xbf1a4643, v39, -v71
	v_add_f32_e32 v88, v90, v88
	v_fmamk_f32 v90, v45, 0xbf59a7d5, v82
	v_mul_f32_e32 v72, 0xbe3c28d5, v72
	v_add_f32_e32 v17, v19, v17
	v_add_f32_e32 v18, v18, v16
	v_fmac_f32_e32 v34, 0xbf06c442, v80
	v_add_f32_e32 v88, v90, v88
	v_fmamk_f32 v90, v48, 0xbe8c1d8e, v84
	v_add_f32_e32 v92, v92, v35
	v_fma_f32 v93, 0xbf7ba420, v42, -v72
	v_mul_f32_e32 v75, 0x3f06c442, v75
	v_add_f32_e32 v13, v13, v17
	v_add_f32_e32 v88, v90, v88
	v_mul_f32_e32 v90, 0x3f6eb680, v40
	v_add_f32_e32 v12, v12, v18
	v_fma_f32 v17, 0xbf1a4643, v40, -v153
	v_add_f32_e32 v35, v34, v85
	v_add_f32_e32 v34, v93, v92
	v_fma_f32 v85, 0xbf59a7d5, v44, -v75
	v_mul_f32_e32 v81, 0x3f763a35, v81
	v_mul_f32_e32 v92, 0x3f3d2fb0, v38
	v_add_f32_e32 v56, v56, v90
	v_add_f32_e32 v13, v15, v13
	;; [unrolled: 1-line block ×4, first 2 shown]
	v_fma_f32 v15, 0xbe8c1d8e, v38, -v157
	v_add_f32_e32 v34, v85, v34
	v_fma_f32 v85, 0xbe8c1d8e, v46, -v81
	v_mul_f32_e32 v78, 0x3f65296c, v78
	v_add_f32_e32 v59, v59, v92
	v_add_f32_e32 v56, v56, v1
	v_mul_f32_e32 v92, 0x3ee437d1, v41
	v_add_f32_e32 v9, v9, v13
	v_add_f32_e32 v8, v8, v12
	;; [unrolled: 1-line block ×3, first 2 shown]
	v_fma_f32 v13, 0x3f6eb680, v41, -v159
	v_fmac_f32_e32 v99, 0x3f4c4adb, v83
	v_mul_f32_e32 v83, 0x3f65296c, v83
	v_add_f32_e32 v85, v85, v34
	v_fma_f32 v93, 0x3ee437d1, v47, -v78
	v_add_f32_e32 v56, v59, v56
	v_add_f32_e32 v59, v63, v92
	;; [unrolled: 1-line block ×3, first 2 shown]
	v_fmac_f32_e32 v160, 0xbf1a4643, v36
	v_add_f32_e32 v8, v10, v8
	v_add_f32_e32 v10, v13, v12
	v_fma_f32 v11, 0xbf59a7d5, v43, -v158
	v_fmamk_f32 v90, v49, 0x3ee437d1, v83
	v_add_f32_e32 v63, v93, v85
	v_mul_f32_e32 v85, 0x3dbcf732, v43
	v_add_f32_e32 v56, v59, v56
	v_mul_f32_e32 v59, 0x3f6eb680, v36
	v_add_f32_e32 v5, v5, v9
	v_add_f32_e32 v9, v160, v0
	v_fmac_f32_e32 v163, 0xbe8c1d8e, v37
	v_add_f32_e32 v4, v4, v8
	v_add_f32_e32 v8, v11, v10
	v_fma_f32 v10, 0x3dbcf732, v45, -v164
	v_add_f32_e32 v88, v90, v88
	v_add_f32_e32 v62, v62, v85
	v_mul_f32_e32 v85, 0xbe8c1d8e, v45
	v_mul_f32_e32 v90, 0x3f3d2fb0, v37
	v_sub_f32_e32 v52, v59, v52
	v_add_f32_e32 v5, v7, v5
	v_add_f32_e32 v7, v163, v9
	;; [unrolled: 1-line block ×4, first 2 shown]
	v_fma_f32 v8, 0x3f3d2fb0, v48, -v168
	v_fma_f32 v9, 0x3f3d2fb0, v40, -v73
	v_add_f32_e32 v56, v62, v56
	v_add_f32_e32 v59, v65, v85
	v_mul_f32_e32 v62, 0xbf1a4643, v48
	v_sub_f32_e32 v65, v90, v53
	v_add_f32_e32 v52, v52, v0
	v_mul_f32_e32 v85, 0x3ee437d1, v39
	v_fmac_f32_e32 v69, 0x3f3d2fb0, v36
	v_add_f32_e32 v6, v8, v6
	v_add_f32_e32 v1, v9, v1
	v_fma_f32 v8, 0x3dbcf732, v38, -v76
	v_add_f32_e32 v56, v59, v56
	v_add_f32_e32 v59, v66, v62
	;; [unrolled: 1-line block ×3, first 2 shown]
	v_mul_f32_e32 v62, 0xbf59a7d5, v49
	v_sub_f32_e32 v54, v85, v54
	v_mul_f32_e32 v65, 0x3dbcf732, v42
	v_add_f32_e32 v0, v69, v0
	v_fmac_f32_e32 v70, 0x3dbcf732, v37
	v_add_f32_e32 v1, v8, v1
	v_fma_f32 v8, 0xbf1a4643, v41, -v74
	v_add_f32_e32 v56, v59, v56
	v_add_f32_e32 v59, v67, v62
	;; [unrolled: 1-line block ×3, first 2 shown]
	v_sub_f32_e32 v55, v65, v55
	v_mul_f32_e32 v62, 0xbe8c1d8e, v44
	v_fmac_f32_e32 v167, 0x3f6eb680, v39
	v_add_f32_e32 v0, v70, v0
	v_fmac_f32_e32 v71, 0xbf1a4643, v39
	v_add_f32_e32 v1, v8, v1
	v_fma_f32 v8, 0xbf7ba420, v43, -v77
	v_add_f32_e32 v56, v59, v56
	v_mul_f32_e32 v59, 0xbf1a4643, v46
	v_add_f32_e32 v54, v55, v54
	v_sub_f32_e32 v57, v62, v57
	v_add_f32_e32 v7, v167, v7
	v_fmac_f32_e32 v169, 0xbf59a7d5, v42
	v_add_f32_e32 v0, v71, v0
	v_fmac_f32_e32 v72, 0xbf7ba420, v42
	v_add_f32_e32 v1, v8, v1
	v_fma_f32 v8, 0xbf59a7d5, v45, -v82
	v_mul_f32_e32 v55, 0xbf7ba420, v51
	v_mul_f32_e32 v32, 0xbf59a7d5, v47
	v_add_f32_e32 v19, v57, v54
	v_sub_f32_e32 v54, v59, v58
	v_add_f32_e32 v7, v169, v7
	v_fmac_f32_e32 v172, 0x3dbcf732, v44
	v_add_f32_e32 v0, v72, v0
	v_fmac_f32_e32 v75, 0xbf59a7d5, v44
	v_add_f32_e32 v1, v8, v1
	v_fma_f32 v8, 0xbe8c1d8e, v48, -v84
	v_fma_f32 v141, 0x3dbcf732, v46, -v150
	v_add_f32_e32 v33, v68, v55
	v_mul_f32_e32 v55, 0xbf7ba420, v50
	v_add_f32_e32 v18, v54, v19
	v_sub_f32_e32 v19, v32, v61
	v_add_f32_e32 v7, v172, v7
	v_fmac_f32_e32 v166, 0x3f3d2fb0, v46
	v_add_f32_e32 v0, v75, v0
	v_fmac_f32_e32 v81, 0xbe8c1d8e, v46
	v_add_f32_e32 v1, v8, v1
	v_mul_lo_u16 v8, v137, 17
	v_fmac_f32_e32 v106, 0x3f2c7751, v80
	v_mul_f32_e32 v80, 0x3eb8f4ab, v80
	v_mul_f32_e32 v79, 0x3eb8f4ab, v79
	v_add_f32_e32 v140, v141, v140
	v_fma_f32 v141, 0x3f6eb680, v47, -v151
	v_add_f32_e32 v17, v19, v18
	v_sub_f32_e32 v18, v55, v64
	v_fma_f32 v9, 0xbf7ba420, v49, -v171
	v_add_f32_e32 v7, v166, v7
	v_fmac_f32_e32 v162, 0xbf7ba420, v47
	v_fma_f32 v10, 0x3ee437d1, v49, -v83
	v_add_f32_e32 v0, v81, v0
	v_fmac_f32_e32 v78, 0x3ee437d1, v47
	v_and_b32_e32 v8, 0xffff, v8
	v_add_f32_e32 v34, v91, v89
	v_fmamk_f32 v89, v51, 0x3f6eb680, v80
	v_fma_f32 v66, 0x3f6eb680, v50, -v79
	v_add_f32_e32 v140, v141, v140
	v_fma_f32 v112, 0xbf1a4643, v50, -v154
	v_add_f32_e32 v94, v99, v102
	v_add_f32_e32 v16, v33, v56
	;; [unrolled: 1-line block ×4, first 2 shown]
	v_fma_f32 v9, 0x3ee437d1, v51, -v161
	v_add_f32_e32 v7, v162, v7
	v_fmac_f32_e32 v143, 0x3ee437d1, v50
	v_add_f32_e32 v10, v10, v1
	v_fma_f32 v11, 0x3f6eb680, v51, -v80
	v_add_f32_e32 v12, v78, v0
	v_fmac_f32_e32 v79, 0x3f6eb680, v50
	v_add_lshl_u32 v8, v136, v8, 3
	v_add_f32_e32 v53, v89, v88
	v_add_f32_e32 v52, v66, v63
	;; [unrolled: 1-line block ×8, first 2 shown]
	ds_write2_b64 v8, v[4:5], v[15:16] offset1:1
	ds_write2_b64 v8, v[52:53], v[34:35] offset0:2 offset1:3
	ds_write2_b64 v8, v[86:87], v[100:101] offset0:4 offset1:5
	;; [unrolled: 1-line block ×7, first 2 shown]
	ds_write_b64 v8, v[2:3] offset:128
.LBB0_7:
	s_or_b32 exec_lo, exec_lo, s4
	v_add_nc_u32_e32 v55, 0xcc, v137
	v_mov_b32_e32 v1, 0xf0f1
	v_and_b32_e32 v0, 0xff, v137
	v_add_nc_u16 v4, v137, 0x44
	v_add_nc_u16 v58, v137, 0x88
	s_load_dwordx4 s[4:7], s[0:1], 0x0
	v_mul_u32_u24_sdwa v33, v55, v1 dst_sel:DWORD dst_unused:UNUSED_PAD src0_sel:WORD_0 src1_sel:DWORD
	v_mul_lo_u16 v0, 0xf1, v0
	v_and_b32_e32 v1, 0xff, v4
	v_and_b32_e32 v34, 0xff, v58
	s_waitcnt lgkmcnt(0)
	v_lshrrev_b32_e32 v57, 20, v33
	v_lshrrev_b16 v56, 12, v0
	v_mul_lo_u16 v1, 0xf1, v1
	s_barrier
	buffer_gl0_inv
	v_mul_lo_u16 v5, v57, 17
	v_mul_lo_u16 v0, v56, 17
	v_lshrrev_b16 v70, 12, v1
	v_add_lshl_u32 v140, v136, v137, 3
	v_mul_lo_u16 v45, 0x79, v34
	v_sub_nc_u16 v59, v55, v5
	v_mul_lo_u16 v5, 0xf1, v34
	v_sub_nc_u16 v0, v137, v0
	v_add_nc_u32_e32 v32, 0x1000, v140
	v_lshrrev_b32_e32 v46, 22, v33
	v_mul_lo_u16 v6, v59, 24
	v_lshrrev_b16 v71, 12, v5
	v_mul_lo_u16 v5, v70, 17
	v_and_b32_e32 v69, 0xff, v0
	v_mov_b32_e32 v74, 0x44
	v_and_b32_e32 v6, 0xffff, v6
	v_mul_lo_u16 v7, v71, 17
	v_sub_nc_u16 v4, v4, v5
	v_mad_u64_u32 v[0:1], null, v69, 24, s[2:3]
	v_add_co_u32 v8, s0, s2, v6
	v_sub_nc_u16 v10, v58, v7
	v_and_b32_e32 v72, 0xff, v4
	v_add_co_ci_u32_e64 v9, null, s3, 0, s0
	s_clause 0x1
	global_load_dwordx4 v[12:15], v[0:1], off
	global_load_dwordx2 v[67:68], v[0:1], off offset:16
	v_and_b32_e32 v73, 0xff, v10
	v_mad_u64_u32 v[0:1], null, v72, 24, s[2:3]
	s_clause 0x1
	global_load_dwordx4 v[4:7], v[8:9], off
	global_load_dwordx2 v[61:62], v[8:9], off offset:16
	v_lshrrev_b16 v75, 13, v45
	v_mad_u64_u32 v[20:21], null, v73, 24, s[2:3]
	s_clause 0x3
	global_load_dwordx4 v[16:19], v[0:1], off
	global_load_dwordx2 v[65:66], v[0:1], off offset:16
	global_load_dwordx4 v[8:11], v[20:21], off
	global_load_dwordx2 v[63:64], v[20:21], off offset:16
	v_add_nc_u32_e32 v0, 0x800, v140
	v_add_nc_u32_e32 v1, 0x1800, v140
	ds_read2_b64 v[20:23], v140 offset1:68
	ds_read2_b64 v[24:27], v140 offset0:136 offset1:204
	ds_read2_b64 v[28:31], v0 offset0:16 offset1:84
	;; [unrolled: 1-line block ×5, first 2 shown]
	v_mul_lo_u16 v76, 0x44, v46
	ds_read2_b64 v[45:48], v32 offset0:168 offset1:236
	ds_read2_b64 v[49:52], v1 offset0:184 offset1:252
	v_mul_u32_u24_sdwa v56, v56, v74 dst_sel:DWORD dst_unused:UNUSED_PAD src0_sel:WORD_0 src1_sel:DWORD
	v_mul_u32_u24_sdwa v70, v70, v74 dst_sel:DWORD dst_unused:UNUSED_PAD src0_sel:WORD_0 src1_sel:DWORD
	v_mad_u16 v57, 0x44, v57, v59
	v_mul_u32_u24_sdwa v59, v71, v74 dst_sel:DWORD dst_unused:UNUSED_PAD src0_sel:WORD_0 src1_sel:DWORD
	v_mul_lo_u16 v75, 0x44, v75
	v_add_nc_u32_e32 v56, v56, v69
	v_add_nc_u32_e32 v69, v70, v72
	v_and_b32_e32 v57, 0xffff, v57
	v_add_nc_u32_e32 v59, v59, v73
	v_sub_nc_u16 v58, v58, v75
	v_add_lshl_u32 v145, v136, v56, 3
	v_add_lshl_u32 v144, v136, v69, 3
	;; [unrolled: 1-line block ×4, first 2 shown]
	v_sub_nc_u16 v55, v55, v76
	s_waitcnt vmcnt(0) lgkmcnt(0)
	s_barrier
	buffer_gl0_inv
	v_and_b32_e32 v58, 0xff, v58
	v_mul_lo_u16 v71, v55, 24
	v_mad_u64_u32 v[53:54], null, v137, 24, s[2:3]
	v_lshlrev_b32_e32 v141, 3, v137
	v_add_lshl_u32 v147, v136, v58, 3
	v_lshl_add_u32 v148, v137, 3, v139
	v_add_nc_u32_e32 v118, 0x1000, v148
	v_add_nc_u32_e32 v150, 0x1800, v148
	;; [unrolled: 1-line block ×3, first 2 shown]
	v_mul_f32_e32 v56, v29, v13
	v_mul_f32_e32 v57, v28, v13
	;; [unrolled: 1-line block ×10, first 2 shown]
	v_fma_f32 v28, v28, v12, -v56
	v_fmac_f32_e32 v57, v29, v12
	v_fma_f32 v29, v33, v14, -v59
	v_fmac_f32_e32 v69, v34, v14
	;; [unrolled: 2-line block ×3, first 2 shown]
	v_mul_f32_e32 v34, v31, v17
	v_mul_f32_e32 v37, v30, v17
	;; [unrolled: 1-line block ×14, first 2 shown]
	v_fma_f32 v43, v43, v4, -v73
	v_fmac_f32_e32 v74, v44, v4
	v_fma_f32 v44, v47, v6, -v75
	v_fma_f32 v47, v51, v61, -v77
	v_fma_f32 v34, v30, v16, -v34
	v_fmac_f32_e32 v37, v31, v16
	v_fma_f32 v30, v35, v18, -v38
	v_fmac_f32_e32 v56, v36, v18
	v_fma_f32 v31, v39, v65, -v59
	v_fmac_f32_e32 v70, v40, v65
	v_sub_f32_e32 v39, v20, v29
	v_sub_f32_e32 v40, v21, v69
	;; [unrolled: 1-line block ×4, first 2 shown]
	v_fmac_f32_e32 v76, v48, v6
	v_fmac_f32_e32 v78, v52, v61
	v_fma_f32 v35, v41, v8, -v79
	v_fmac_f32_e32 v80, v42, v8
	v_fma_f32 v36, v45, v10, -v81
	;; [unrolled: 2-line block ×3, first 2 shown]
	v_fmac_f32_e32 v84, v50, v63
	v_sub_f32_e32 v41, v26, v44
	v_sub_f32_e32 v44, v43, v47
	v_fma_f32 v46, v20, 2.0, -v39
	v_fma_f32 v47, v21, 2.0, -v40
	;; [unrolled: 1-line block ×3, first 2 shown]
	v_sub_f32_e32 v20, v39, v33
	v_add_f32_e32 v21, v40, v29
	v_sub_f32_e32 v49, v22, v30
	v_sub_f32_e32 v50, v23, v56
	;; [unrolled: 1-line block ×10, first 2 shown]
	v_fma_f32 v28, v28, 2.0, -v29
	v_sub_f32_e32 v29, v47, v48
	v_fma_f32 v30, v39, 2.0, -v20
	v_fma_f32 v31, v40, 2.0, -v21
	;; [unrolled: 1-line block ×10, first 2 shown]
	v_sub_f32_e32 v26, v41, v45
	v_add_f32_e32 v27, v42, v44
	v_sub_f32_e32 v22, v49, v51
	v_fma_f32 v51, v24, 2.0, -v52
	v_fma_f32 v72, v25, 2.0, -v56
	;; [unrolled: 1-line block ×4, first 2 shown]
	v_sub_f32_e32 v28, v46, v28
	v_add_f32_e32 v23, v50, v33
	v_sub_f32_e32 v39, v48, v39
	v_sub_f32_e32 v40, v70, v40
	;; [unrolled: 1-line block ×3, first 2 shown]
	v_add_f32_e32 v25, v56, v36
	v_sub_f32_e32 v33, v57, v43
	v_sub_f32_e32 v43, v51, v44
	;; [unrolled: 1-line block ×4, first 2 shown]
	v_fma_f32 v37, v46, 2.0, -v28
	v_fma_f32 v38, v47, 2.0, -v29
	;; [unrolled: 1-line block ×6, first 2 shown]
	ds_write2_b64 v145, v[28:29], v[20:21] offset0:34 offset1:51
	v_fma_f32 v28, v48, 2.0, -v39
	v_fma_f32 v29, v70, 2.0, -v40
	;; [unrolled: 1-line block ×8, first 2 shown]
	ds_write2_b64 v145, v[37:38], v[30:31] offset1:17
	ds_write2_b64 v144, v[39:40], v[22:23] offset0:34 offset1:51
	ds_write2_b64 v144, v[28:29], v[41:42] offset1:17
	ds_write2_b64 v143, v[47:48], v[45:46] offset1:17
	ds_write2_b64 v143, v[43:44], v[24:25] offset0:34 offset1:51
	ds_write2_b64 v142, v[20:21], v[35:36] offset1:17
	ds_write2_b64 v142, v[33:34], v[26:27] offset0:34 offset1:51
	v_and_b32_e32 v22, 0xffff, v71
	v_mad_u64_u32 v[20:21], null, v58, 24, s[2:3]
	s_waitcnt lgkmcnt(0)
	s_barrier
	v_add_co_u32 v33, s0, s2, v22
	v_add_co_ci_u32_e64 v34, null, s3, 0, s0
	buffer_gl0_inv
	s_clause 0x5
	global_load_dwordx4 v[28:31], v[53:54], off offset:408
	global_load_dwordx4 v[24:27], v[20:21], off offset:408
	global_load_dwordx2 v[73:74], v[53:54], off offset:424
	global_load_dwordx2 v[71:72], v[20:21], off offset:424
	global_load_dwordx4 v[20:23], v[33:34], off offset:408
	global_load_dwordx2 v[69:70], v[33:34], off offset:424
	v_and_b32_e32 v41, 0xffff, v55
	ds_read2_b64 v[33:36], v0 offset0:16 offset1:84
	ds_read2_b64 v[37:40], v32 offset0:32 offset1:100
	v_add_co_u32 v59, s0, s2, v141
	v_add_lshl_u32 v146, v136, v41, 3
	ds_read2_b64 v[41:44], v1 offset0:48 offset1:116
	ds_read2_b64 v[45:48], v0 offset0:152 offset1:220
	ds_read2_b64 v[49:52], v140 offset1:68
	ds_read2_b64 v[53:56], v32 offset0:168 offset1:236
	ds_read2_b64 v[75:78], v140 offset0:136 offset1:204
	;; [unrolled: 1-line block ×3, first 2 shown]
	v_add_co_ci_u32_e64 v93, null, s3, 0, s0
	v_add_co_u32 v57, s0, 0x800, v59
	v_add_nc_u32_e32 v84, 0x1000, v147
	v_add_co_ci_u32_e64 v58, s0, 0, v93, s0
	v_add_nc_u32_e32 v83, 0x1800, v146
	s_waitcnt vmcnt(0) lgkmcnt(0)
	s_barrier
	buffer_gl0_inv
	v_mul_f32_e32 v85, v34, v29
	v_mul_f32_e32 v86, v33, v29
	;; [unrolled: 1-line block ×24, first 2 shown]
	v_fma_f32 v33, v33, v28, -v85
	v_fmac_f32_e32 v86, v34, v28
	v_fma_f32 v34, v37, v30, -v87
	v_fmac_f32_e32 v88, v38, v30
	;; [unrolled: 2-line block ×12, first 2 shown]
	v_sub_f32_e32 v45, v49, v34
	v_sub_f32_e32 v46, v50, v88
	;; [unrolled: 1-line block ×16, first 2 shown]
	v_fma_f32 v79, v49, 2.0, -v45
	v_fma_f32 v80, v50, 2.0, -v46
	v_fma_f32 v49, v33, 2.0, -v34
	v_fma_f32 v50, v86, 2.0, -v37
	v_sub_f32_e32 v33, v45, v37
	v_add_f32_e32 v34, v46, v34
	v_fma_f32 v81, v51, 2.0, -v47
	v_fma_f32 v82, v52, 2.0, -v48
	;; [unrolled: 1-line block ×4, first 2 shown]
	v_sub_f32_e32 v35, v47, v38
	v_fma_f32 v85, v75, 2.0, -v53
	v_fma_f32 v86, v76, 2.0, -v54
	;; [unrolled: 1-line block ×4, first 2 shown]
	v_sub_f32_e32 v37, v53, v41
	v_add_f32_e32 v38, v54, v40
	v_fma_f32 v87, v77, 2.0, -v55
	v_fma_f32 v88, v78, 2.0, -v56
	;; [unrolled: 1-line block ×4, first 2 shown]
	v_sub_f32_e32 v41, v79, v49
	v_sub_f32_e32 v42, v80, v50
	v_add_f32_e32 v36, v48, v36
	v_sub_f32_e32 v39, v55, v44
	v_add_f32_e32 v40, v56, v43
	v_fma_f32 v43, v45, 2.0, -v33
	v_fma_f32 v44, v46, 2.0, -v34
	v_sub_f32_e32 v45, v81, v51
	v_sub_f32_e32 v46, v82, v52
	v_sub_f32_e32 v49, v85, v75
	v_sub_f32_e32 v50, v86, v76
	v_fma_f32 v51, v53, 2.0, -v37
	v_fma_f32 v52, v54, 2.0, -v38
	v_sub_f32_e32 v53, v87, v77
	v_sub_f32_e32 v54, v88, v78
	v_fma_f32 v75, v79, 2.0, -v41
	v_fma_f32 v76, v80, 2.0, -v42
	;; [unrolled: 1-line block ×12, first 2 shown]
	ds_write2_b64 v140, v[41:42], v[33:34] offset0:136 offset1:204
	ds_write2_b64 v0, v[45:46], v[35:36] offset0:152 offset1:220
	ds_write2_b64 v140, v[75:76], v[43:44] offset1:68
	ds_write2_b64 v0, v[77:78], v[47:48] offset0:16 offset1:84
	ds_write2_b64 v84, v[79:80], v[51:52] offset0:32 offset1:100
	ds_write2_b64 v84, v[49:50], v[37:38] offset0:168 offset1:236
	ds_write2_b64 v83, v[81:82], v[55:56] offset0:48 offset1:116
	ds_write2_b64 v83, v[53:54], v[39:40] offset0:184 offset1:252
	s_waitcnt lgkmcnt(0)
	s_barrier
	buffer_gl0_inv
	s_clause 0x3
	global_load_dwordx2 v[81:82], v141, s[2:3] offset:2040
	global_load_dwordx2 v[79:80], v[57:58], off offset:536
	global_load_dwordx2 v[75:76], v[57:58], off offset:1080
	;; [unrolled: 1-line block ×3, first 2 shown]
	ds_read2_b64 v[33:36], v32 offset0:32 offset1:100
	ds_read2_b64 v[37:40], v32 offset0:168 offset1:236
	;; [unrolled: 1-line block ×4, first 2 shown]
	ds_read2_b64 v[49:52], v140 offset1:68
	ds_read2_b64 v[53:56], v140 offset0:136 offset1:204
	ds_read2_b64 v[83:86], v0 offset0:16 offset1:84
	;; [unrolled: 1-line block ×3, first 2 shown]
	v_add_co_u32 v57, s0, 0x1000, v59
	v_add_co_ci_u32_e64 v58, s0, 0, v93, s0
	s_waitcnt vmcnt(0) lgkmcnt(0)
	s_barrier
	buffer_gl0_inv
	v_mul_f32_e32 v91, v34, v82
	v_mul_f32_e32 v92, v33, v82
	;; [unrolled: 1-line block ×16, first 2 shown]
	v_fma_f32 v33, v33, v81, -v91
	v_fmac_f32_e32 v92, v34, v81
	v_fma_f32 v35, v35, v79, -v94
	v_fmac_f32_e32 v95, v36, v79
	;; [unrolled: 2-line block ×8, first 2 shown]
	v_sub_f32_e32 v33, v49, v33
	v_sub_f32_e32 v34, v50, v92
	;; [unrolled: 1-line block ×16, first 2 shown]
	v_fma_f32 v49, v49, 2.0, -v33
	v_fma_f32 v50, v50, 2.0, -v34
	;; [unrolled: 1-line block ×16, first 2 shown]
	ds_write2_b64 v0, v[33:34], v[35:36] offset0:16 offset1:84
	ds_write2_b64 v0, v[37:38], v[39:40] offset0:152 offset1:220
	;; [unrolled: 1-line block ×4, first 2 shown]
	ds_write2_b64 v140, v[49:50], v[51:52] offset1:68
	ds_write2_b64 v140, v[53:54], v[55:56] offset0:136 offset1:204
	ds_write2_b64 v32, v[83:84], v[85:86] offset0:32 offset1:100
	;; [unrolled: 1-line block ×3, first 2 shown]
	v_add_co_u32 v33, s0, 0x1800, v59
	v_add_co_ci_u32_e64 v34, s0, 0, v93, s0
	s_waitcnt lgkmcnt(0)
	s_barrier
	buffer_gl0_inv
	s_clause 0x7
	global_load_dwordx2 v[91:92], v[57:58], off offset:120
	global_load_dwordx2 v[83:84], v[57:58], off offset:664
	;; [unrolled: 1-line block ×8, first 2 shown]
	ds_read2_b64 v[33:36], v32 offset0:32 offset1:100
	ds_read2_b64 v[37:40], v32 offset0:168 offset1:236
	ds_read2_b64 v[41:44], v1 offset0:48 offset1:116
	ds_read2_b64 v[45:48], v1 offset0:184 offset1:252
	ds_read2_b64 v[102:105], v140 offset1:68
	ds_read2_b64 v[106:109], v140 offset0:136 offset1:204
	ds_read2_b64 v[110:113], v0 offset0:16 offset1:84
	;; [unrolled: 1-line block ×3, first 2 shown]
	v_add_nc_u32_e32 v101, v141, v139
	s_waitcnt vmcnt(5) lgkmcnt(6)
	v_mul_f32_e32 v50, v38, v98
	v_mul_f32_e32 v51, v37, v98
	s_waitcnt vmcnt(4)
	v_mul_f32_e32 v52, v40, v94
	v_mul_f32_e32 v0, v34, v92
	v_mul_f32_e32 v1, v33, v92
	v_mul_f32_e32 v32, v36, v84
	v_mul_f32_e32 v49, v35, v84
	v_mul_f32_e32 v54, v39, v94
	s_waitcnt vmcnt(3) lgkmcnt(5)
	v_mul_f32_e32 v53, v42, v88
	v_mul_f32_e32 v55, v41, v88
	s_waitcnt vmcnt(2)
	v_mul_f32_e32 v56, v44, v96
	v_mul_f32_e32 v58, v43, v96
	s_waitcnt vmcnt(1) lgkmcnt(4)
	v_mul_f32_e32 v57, v46, v86
	v_mul_f32_e32 v59, v45, v86
	s_waitcnt vmcnt(0)
	v_mul_f32_e32 v99, v48, v90
	v_mul_f32_e32 v100, v47, v90
	v_fma_f32 v0, v33, v91, -v0
	v_fmac_f32_e32 v1, v34, v91
	v_fma_f32 v32, v35, v83, -v32
	v_fmac_f32_e32 v49, v36, v83
	;; [unrolled: 2-line block ×8, first 2 shown]
	s_waitcnt lgkmcnt(3)
	v_sub_f32_e32 v56, v102, v0
	v_sub_f32_e32 v57, v103, v1
	v_sub_f32_e32 v52, v104, v32
	v_sub_f32_e32 v53, v105, v49
	s_waitcnt lgkmcnt(2)
	v_sub_f32_e32 v48, v106, v33
	v_sub_f32_e32 v49, v107, v51
	v_sub_f32_e32 v44, v108, v34
	v_sub_f32_e32 v45, v109, v54
	;; [unrolled: 5-line block ×4, first 2 shown]
	v_fma_f32 v99, v102, 2.0, -v56
	v_fma_f32 v100, v103, 2.0, -v57
	;; [unrolled: 1-line block ×16, first 2 shown]
	ds_write2_b64 v118, v[56:57], v[52:53] offset0:32 offset1:100
	ds_write2_b64 v118, v[48:49], v[44:45] offset0:168 offset1:236
	;; [unrolled: 1-line block ×3, first 2 shown]
	ds_write2_b64 v148, v[99:100], v[58:59] offset1:68
	ds_write2_b64 v148, v[54:55], v[50:51] offset0:136 offset1:204
	ds_write2_b64 v149, v[46:47], v[42:43] offset0:16 offset1:84
	ds_write_b64 v148, v[38:39] offset:3264
	ds_write_b64 v101, v[32:33] offset:7616
	;; [unrolled: 1-line block ×4, first 2 shown]
	s_waitcnt lgkmcnt(0)
	s_barrier
	buffer_gl0_inv
	s_and_saveexec_b32 s2, vcc_lo
	s_cbranch_execz .LBB0_9
; %bb.8:
	v_or_b32_e32 v104, 0x800, v133
	v_or_b32_e32 v105, 0xa00, v133
	s_add_u32 s0, s12, 0x2200
	s_addc_u32 s1, s13, 0
	s_clause 0x4
	global_load_dwordx2 v[102:103], v133, s[0:1]
	global_load_dwordx2 v[165:166], v133, s[0:1] offset:512
	global_load_dwordx2 v[167:168], v133, s[0:1] offset:1024
	global_load_dwordx2 v[173:174], v105, s[0:1]
	global_load_dwordx2 v[171:172], v104, s[0:1]
	v_or_b32_e32 v104, 0xe00, v133
	v_or_b32_e32 v105, 0x1000, v133
	global_load_dwordx2 v[169:170], v133, s[0:1] offset:1536
	v_or_b32_e32 v106, 0xc00, v133
	s_clause 0x1
	global_load_dwordx2 v[177:178], v104, s[0:1]
	global_load_dwordx2 v[179:180], v105, s[0:1]
	v_or_b32_e32 v104, 0x1400, v133
	v_or_b32_e32 v105, 0x1600, v133
	s_clause 0x2
	global_load_dwordx2 v[175:176], v106, s[0:1]
	global_load_dwordx2 v[183:184], v104, s[0:1]
	global_load_dwordx2 v[185:186], v105, s[0:1]
	v_or_b32_e32 v104, 0x1a00, v133
	v_or_b32_e32 v105, 0x1c00, v133
	global_load_dwordx2 v[189:190], v104, s[0:1]
	v_or_b32_e32 v106, 0x1200, v133
	v_or_b32_e32 v104, 0x2000, v133
	global_load_dwordx2 v[181:182], v106, s[0:1]
	v_or_b32_e32 v106, 0x1800, v133
	global_load_dwordx2 v[187:188], v106, s[0:1]
	v_or_b32_e32 v106, 0x1e00, v133
	s_clause 0x2
	global_load_dwordx2 v[191:192], v105, s[0:1]
	global_load_dwordx2 v[193:194], v106, s[0:1]
	;; [unrolled: 1-line block ×3, first 2 shown]
	ds_read_b64 v[104:105], v138
	s_waitcnt vmcnt(16) lgkmcnt(0)
	v_mul_f32_e32 v106, v105, v103
	v_mul_f32_e32 v107, v104, v103
	v_fma_f32 v106, v104, v102, -v106
	v_fmac_f32_e32 v107, v105, v102
	ds_write_b64 v138, v[106:107]
	ds_read2st64_b64 v[102:105], v148 offset0:1 offset1:2
	ds_read2st64_b64 v[106:109], v148 offset0:3 offset1:4
	;; [unrolled: 1-line block ×8, first 2 shown]
	s_waitcnt vmcnt(15) lgkmcnt(7)
	v_mul_f32_e32 v198, v103, v166
	v_mul_f32_e32 v197, v102, v166
	s_waitcnt vmcnt(14)
	v_mul_f32_e32 v199, v105, v168
	v_mul_f32_e32 v166, v104, v168
	s_waitcnt vmcnt(11) lgkmcnt(6)
	v_mul_f32_e32 v200, v107, v170
	v_mul_f32_e32 v168, v106, v170
	v_mul_f32_e32 v201, v109, v172
	v_mul_f32_e32 v170, v108, v172
	s_waitcnt lgkmcnt(5)
	v_mul_f32_e32 v202, v111, v174
	v_mul_f32_e32 v172, v110, v174
	s_waitcnt vmcnt(8)
	v_mul_f32_e32 v203, v113, v176
	v_mul_f32_e32 v174, v112, v176
	s_waitcnt lgkmcnt(4)
	v_mul_f32_e32 v204, v115, v178
	v_mul_f32_e32 v176, v114, v178
	;; [unrolled: 1-line block ×4, first 2 shown]
	s_waitcnt vmcnt(4) lgkmcnt(3)
	v_mul_f32_e32 v206, v150, v182
	v_mul_f32_e32 v118, v149, v182
	;; [unrolled: 1-line block ×4, first 2 shown]
	s_waitcnt lgkmcnt(2)
	v_mul_f32_e32 v208, v154, v186
	v_mul_f32_e32 v182, v153, v186
	s_waitcnt vmcnt(3)
	v_mul_f32_e32 v209, v156, v188
	v_mul_f32_e32 v184, v155, v188
	s_waitcnt lgkmcnt(1)
	v_mul_f32_e32 v210, v158, v190
	v_mul_f32_e32 v186, v157, v190
	s_waitcnt vmcnt(2)
	v_mul_f32_e32 v211, v160, v192
	v_mul_f32_e32 v188, v159, v192
	s_waitcnt vmcnt(1) lgkmcnt(0)
	v_mul_f32_e32 v212, v162, v194
	v_mul_f32_e32 v190, v161, v194
	s_waitcnt vmcnt(0)
	v_mul_f32_e32 v194, v164, v196
	v_mul_f32_e32 v192, v163, v196
	v_fma_f32 v196, v102, v165, -v198
	v_fmac_f32_e32 v197, v103, v165
	v_fma_f32 v165, v104, v167, -v199
	v_fmac_f32_e32 v166, v105, v167
	;; [unrolled: 2-line block ×16, first 2 shown]
	ds_write2st64_b64 v148, v[196:197], v[165:166] offset0:1 offset1:2
	ds_write2st64_b64 v148, v[167:168], v[169:170] offset0:3 offset1:4
	;; [unrolled: 1-line block ×8, first 2 shown]
.LBB0_9:
	s_or_b32 exec_lo, exec_lo, s2
	s_waitcnt lgkmcnt(0)
	s_barrier
	buffer_gl0_inv
	s_and_saveexec_b32 s0, vcc_lo
	s_cbranch_execz .LBB0_11
; %bb.10:
	ds_read_b64 v[99:100], v138
	ds_read2st64_b64 v[56:59], v148 offset0:1 offset1:2
	ds_read2st64_b64 v[52:55], v148 offset0:3 offset1:4
	;; [unrolled: 1-line block ×8, first 2 shown]
.LBB0_11:
	s_or_b32 exec_lo, exec_lo, s0
	v_add_nc_u32_e32 v150, 0xcc0, v101
	v_add_nc_u32_e32 v149, 0xee0, v101
	s_waitcnt lgkmcnt(0)
	s_barrier
	buffer_gl0_inv
	s_and_saveexec_b32 s0, vcc_lo
	s_cbranch_execz .LBB0_13
; %bb.12:
	v_sub_f32_e32 v157, v56, v2
	v_add_f32_e32 v182, v3, v57
	v_sub_f32_e32 v154, v58, v0
	v_add_f32_e32 v181, v1, v59
	v_sub_f32_e32 v152, v52, v34
	v_mul_f32_e32 v188, 0xbf65296c, v157
	v_add_f32_e32 v180, v35, v53
	v_mul_f32_e32 v190, 0xbf4c4adb, v154
	v_sub_f32_e32 v153, v54, v32
	v_mul_f32_e32 v191, 0x3e3c28d5, v152
	v_fmamk_f32 v101, v182, 0x3ee437d1, v188
	v_add_f32_e32 v177, v33, v55
	v_fmamk_f32 v102, v181, 0xbf1a4643, v190
	v_sub_f32_e32 v155, v48, v38
	v_mul_f32_e32 v193, 0x3f763a35, v153
	v_add_f32_e32 v101, v100, v101
	v_fmamk_f32 v103, v180, 0xbf7ba420, v191
	v_sub_f32_e32 v169, v57, v3
	v_add_f32_e32 v178, v39, v49
	v_sub_f32_e32 v156, v50, v36
	v_add_f32_e32 v101, v102, v101
	v_mul_f32_e32 v194, 0x3f2c7751, v155
	v_fmamk_f32 v102, v177, 0xbe8c1d8e, v193
	v_add_f32_e32 v159, v2, v56
	v_mul_f32_e32 v197, 0xbf65296c, v169
	v_add_f32_e32 v101, v103, v101
	v_sub_f32_e32 v173, v59, v1
	v_add_f32_e32 v179, v37, v51
	v_sub_f32_e32 v151, v44, v42
	v_mul_f32_e32 v184, 0xbeb8f4ab, v156
	v_fmamk_f32 v103, v178, 0x3f3d2fb0, v194
	v_add_f32_e32 v101, v102, v101
	v_add_f32_e32 v160, v0, v58
	v_fma_f32 v104, 0x3ee437d1, v159, -v197
	v_mul_f32_e32 v185, 0xbf4c4adb, v173
	v_sub_f32_e32 v167, v53, v35
	v_fmamk_f32 v102, v179, 0x3f6eb680, v184
	v_add_f32_e32 v101, v103, v101
	v_mul_f32_e32 v183, 0xbf7ee86f, v151
	v_add_f32_e32 v170, v43, v45
	v_add_f32_e32 v103, v99, v104
	v_fma_f32 v104, 0xbf1a4643, v160, -v185
	v_add_f32_e32 v161, v34, v52
	v_mul_f32_e32 v186, 0x3e3c28d5, v167
	v_sub_f32_e32 v168, v55, v33
	v_add_f32_e32 v101, v102, v101
	v_fmamk_f32 v102, v170, 0x3dbcf732, v183
	v_add_f32_e32 v103, v104, v103
	v_fma_f32 v104, 0xbf7ba420, v161, -v186
	v_add_f32_e32 v162, v32, v54
	v_mul_f32_e32 v189, 0x3f763a35, v168
	v_sub_f32_e32 v171, v49, v39
	v_add_f32_e32 v101, v102, v101
	v_sub_f32_e32 v158, v46, v40
	v_add_f32_e32 v102, v104, v103
	v_fma_f32 v103, 0xbe8c1d8e, v162, -v189
	v_add_f32_e32 v163, v38, v48
	v_mul_f32_e32 v192, 0x3f2c7751, v171
	v_sub_f32_e32 v172, v51, v37
	v_mul_f32_e32 v187, 0xbf06c442, v158
	v_add_f32_e32 v175, v41, v47
	v_add_f32_e32 v102, v103, v102
	v_fma_f32 v103, 0x3f3d2fb0, v163, -v192
	v_add_f32_e32 v164, v36, v50
	v_mul_f32_e32 v195, 0xbeb8f4ab, v172
	v_fmamk_f32 v104, v175, 0xbf59a7d5, v187
	v_sub_f32_e32 v174, v45, v43
	v_add_f32_e32 v103, v103, v102
	v_mul_f32_e32 v118, 0xbf7ee86f, v157
	v_fma_f32 v105, 0x3f6eb680, v164, -v195
	v_add_f32_e32 v102, v104, v101
	v_add_f32_e32 v165, v42, v44
	v_mul_f32_e32 v198, 0xbf7ee86f, v174
	v_sub_f32_e32 v176, v47, v41
	v_add_f32_e32 v101, v105, v103
	v_fmamk_f32 v103, v182, 0x3dbcf732, v118
	v_mul_f32_e32 v208, 0xbe3c28d5, v154
	v_fma_f32 v104, 0x3dbcf732, v165, -v198
	v_add_f32_e32 v166, v40, v46
	v_mul_f32_e32 v196, 0xbf06c442, v176
	v_add_f32_e32 v103, v100, v103
	v_fmamk_f32 v105, v181, 0xbf7ba420, v208
	v_mul_f32_e32 v117, 0x3f763a35, v152
	v_add_f32_e32 v101, v104, v101
	v_fma_f32 v104, 0xbf59a7d5, v166, -v196
	v_mul_f32_e32 v211, 0xbf7ee86f, v169
	v_add_f32_e32 v103, v105, v103
	v_fmamk_f32 v105, v180, 0xbe8c1d8e, v117
	v_mul_f32_e32 v209, 0x3eb8f4ab, v153
	v_add_f32_e32 v101, v104, v101
	v_fma_f32 v104, 0x3dbcf732, v159, -v211
	;; [unrolled: 6-line block ×26, first 2 shown]
	v_mul_f32_e32 v238, 0x3eb8f4ab, v173
	v_add_f32_e32 v241, v244, v241
	v_fmamk_f32 v244, v177, 0x3f3d2fb0, v245
	v_mul_f32_e32 v246, 0xbf4c4adb, v155
	v_fmac_f32_e32 v243, 0xbf7ba420, v159
	v_add_f32_e32 v110, v99, v110
	v_fma_f32 v247, 0x3f6eb680, v160, -v238
	v_mul_f32_e32 v248, 0xbf06c442, v167
	v_add_f32_e32 v241, v244, v241
	v_fmamk_f32 v244, v178, 0xbf1a4643, v246
	v_mul_f32_e32 v249, 0x3f65296c, v156
	v_add_f32_e32 v243, v99, v243
	v_fmac_f32_e32 v238, 0x3f6eb680, v160
	v_add_f32_e32 v110, v247, v110
	v_fma_f32 v247, 0xbf59a7d5, v161, -v248
	v_mul_f32_e32 v250, 0x3f2c7751, v168
	v_add_f32_e32 v241, v244, v241
	v_fmamk_f32 v244, v179, 0x3ee437d1, v249
	v_mul_f32_e32 v251, 0xbf763a35, v151
	v_add_f32_e32 v238, v238, v243
	v_fmac_f32_e32 v248, 0xbf59a7d5, v161
	v_fma_f32 v111, 0xbf59a7d5, v182, -v111
	v_add_f32_e32 v110, v247, v110
	v_fma_f32 v247, 0x3f3d2fb0, v162, -v250
	v_mul_f32_e32 v252, 0xbf4c4adb, v171
	v_add_f32_e32 v241, v244, v241
	v_fmamk_f32 v244, v170, 0xbe8c1d8e, v251
	v_mul_f32_e32 v253, 0x3f7ee86f, v158
	v_add_f32_e32 v238, v248, v238
	v_fmac_f32_e32 v250, 0x3f3d2fb0, v162
	v_add_f32_e32 v111, v100, v111
	v_fma_f32 v112, 0x3ee437d1, v181, -v112
	v_add_f32_e32 v110, v247, v110
	v_fma_f32 v247, 0xbf1a4643, v163, -v252
	v_mul_f32_e32 v254, 0x3f65296c, v172
	v_fma_f32 v237, 0xbf7ba420, v182, -v237
	v_add_f32_e32 v241, v244, v241
	v_fmamk_f32 v244, v175, 0x3dbcf732, v253
	v_add_f32_e32 v238, v250, v238
	v_fmac_f32_e32 v252, 0xbf1a4643, v163
	v_add_f32_e32 v111, v112, v111
	v_fma_f32 v112, 0x3dbcf732, v180, -v113
	v_add_f32_e32 v247, v247, v110
	v_fma_f32 v255, 0x3ee437d1, v164, -v254
	v_add_f32_e32 v237, v100, v237
	v_fma_f32 v109, 0x3f6eb680, v181, -v109
	v_add_f32_e32 v110, v244, v241
	v_mul_f32_e32 v241, 0xbf763a35, v174
	v_add_f32_e32 v113, v252, v238
	v_fmac_f32_e32 v254, 0x3ee437d1, v164
	v_add_f32_e32 v111, v112, v111
	v_fma_f32 v227, 0xbf1a4643, v177, -v227
	v_add_f32_e32 v244, v255, v247
	v_add_f32_e32 v109, v109, v237
	v_fma_f32 v237, 0xbf59a7d5, v180, -v242
	v_fma_f32 v242, 0xbe8c1d8e, v165, -v241
	v_mul_f32_e32 v247, 0x3f7ee86f, v176
	v_add_f32_e32 v113, v254, v113
	v_fmac_f32_e32 v241, 0xbe8c1d8e, v165
	v_fmac_f32_e32 v114, 0xbf59a7d5, v159
	v_add_f32_e32 v111, v227, v111
	v_fma_f32 v227, 0x3f6eb680, v178, -v229
	v_add_f32_e32 v109, v237, v109
	v_fma_f32 v237, 0x3f3d2fb0, v177, -v245
	;; [unrolled: 2-line block ×3, first 2 shown]
	v_add_f32_e32 v113, v241, v113
	v_fmac_f32_e32 v247, 0x3dbcf732, v166
	v_add_f32_e32 v114, v99, v114
	v_fmac_f32_e32 v228, 0x3ee437d1, v160
	v_add_f32_e32 v227, v227, v111
	v_fma_f32 v229, 0xbf7ba420, v179, -v231
	v_mul_f32_e32 v231, 0xbf1a4643, v182
	v_add_f32_e32 v237, v237, v109
	v_fma_f32 v243, 0xbf1a4643, v178, -v246
	v_add_f32_e32 v111, v247, v113
	v_add_f32_e32 v113, v228, v114
	v_fmac_f32_e32 v230, 0x3dbcf732, v161
	v_add_f32_e32 v114, v229, v227
	v_fma_f32 v227, 0x3f3d2fb0, v170, -v233
	v_fmamk_f32 v228, v157, 0x3f4c4adb, v231
	v_mul_f32_e32 v229, 0xbe8c1d8e, v181
	v_add_f32_e32 v109, v244, v242
	v_add_f32_e32 v237, v243, v237
	v_fma_f32 v242, 0x3ee437d1, v179, -v249
	v_add_f32_e32 v113, v230, v113
	v_fmac_f32_e32 v232, 0xbf1a4643, v162
	v_add_f32_e32 v114, v227, v114
	v_add_f32_e32 v227, v100, v228
	v_fmamk_f32 v228, v154, 0xbf763a35, v229
	v_mul_f32_e32 v230, 0x3f6eb680, v180
	v_add_f32_e32 v237, v242, v237
	v_fma_f32 v242, 0xbe8c1d8e, v170, -v251
	v_add_f32_e32 v113, v232, v113
	v_fmac_f32_e32 v234, 0x3f6eb680, v163
	v_fma_f32 v232, 0xbe8c1d8e, v175, -v235
	v_add_f32_e32 v227, v228, v227
	v_fmamk_f32 v228, v152, 0x3eb8f4ab, v230
	v_mul_f32_e32 v233, 0xbf59a7d5, v177
	v_add_f32_e32 v237, v242, v237
	v_fma_f32 v238, 0x3dbcf732, v175, -v253
	v_add_f32_e32 v113, v234, v113
	v_fmac_f32_e32 v236, 0xbf7ba420, v164
	v_add_f32_e32 v114, v232, v114
	v_add_f32_e32 v227, v228, v227
	v_fmamk_f32 v228, v153, 0x3f06c442, v233
	v_mul_f32_e32 v232, 0x3dbcf732, v178
	v_mul_f32_e32 v234, 0xbf4c4adb, v169
	v_add_f32_e32 v112, v238, v237
	v_add_f32_e32 v113, v236, v113
	v_fmac_f32_e32 v239, 0x3f3d2fb0, v165
	v_add_f32_e32 v227, v228, v227
	v_fmamk_f32 v228, v155, 0xbf7ee86f, v232
	v_mul_f32_e32 v235, 0x3f3d2fb0, v179
	v_fmamk_f32 v236, v159, 0xbf1a4643, v234
	v_mul_f32_e32 v237, 0x3f763a35, v173
	v_add_f32_e32 v113, v239, v113
	v_add_f32_e32 v227, v228, v227
	v_fmamk_f32 v228, v156, 0x3f2c7751, v235
	v_mul_f32_e32 v238, 0xbf7ba420, v170
	v_add_f32_e32 v236, v99, v236
	v_fmamk_f32 v239, v160, 0xbe8c1d8e, v237
	v_mul_f32_e32 v241, 0xbeb8f4ab, v167
	v_fmac_f32_e32 v240, 0xbe8c1d8e, v166
	v_add_f32_e32 v227, v228, v227
	v_fmamk_f32 v228, v151, 0x3e3c28d5, v238
	v_add_f32_e32 v236, v239, v236
	v_fmamk_f32 v239, v161, 0x3f6eb680, v241
	v_mul_f32_e32 v242, 0xbf06c442, v168
	v_fma_f32 v115, 0xbe8c1d8e, v182, -v115
	v_add_f32_e32 v57, v57, v100
	v_add_f32_e32 v113, v240, v113
	;; [unrolled: 1-line block ×4, first 2 shown]
	v_fmamk_f32 v236, v162, 0xbf59a7d5, v242
	v_mul_f32_e32 v239, 0x3f7ee86f, v171
	v_mul_f32_e32 v240, 0x3ee437d1, v175
	v_add_f32_e32 v115, v100, v115
	v_fma_f32 v116, 0xbf59a7d5, v181, -v116
	v_add_f32_e32 v57, v59, v57
	v_add_f32_e32 v228, v236, v228
	v_fmamk_f32 v236, v163, 0x3dbcf732, v239
	v_mul_f32_e32 v243, 0xbf2c7751, v172
	v_fmamk_f32 v244, v158, 0xbf65296c, v240
	v_add_f32_e32 v115, v116, v115
	v_fma_f32 v213, 0x3f3d2fb0, v180, -v213
	v_fmac_f32_e32 v211, 0x3dbcf732, v159
	v_fma_f32 v188, 0x3ee437d1, v182, -v188
	v_add_f32_e32 v53, v53, v57
	v_add_f32_e32 v56, v56, v99
	;; [unrolled: 1-line block ×3, first 2 shown]
	v_fmamk_f32 v236, v164, 0x3f3d2fb0, v243
	v_add_f32_e32 v116, v244, v227
	v_fmac_f32_e32 v214, 0xbe8c1d8e, v159
	v_add_f32_e32 v115, v213, v115
	v_fma_f32 v213, 0x3ee437d1, v177, -v215
	v_mul_f32_e32 v227, 0xbe3c28d5, v174
	v_add_f32_e32 v211, v99, v211
	v_fmac_f32_e32 v212, 0xbf7ba420, v160
	v_add_f32_e32 v188, v100, v188
	v_fma_f32 v190, 0xbf1a4643, v181, -v190
	v_add_f32_e32 v53, v55, v53
	v_add_f32_e32 v55, v58, v56
	;; [unrolled: 1-line block ×4, first 2 shown]
	v_fmac_f32_e32 v216, 0xbf59a7d5, v160
	v_add_f32_e32 v115, v213, v115
	v_fma_f32 v213, 0xbf7ba420, v178, -v217
	v_fmamk_f32 v217, v165, 0xbf7ba420, v227
	v_mul_f32_e32 v228, 0x3f65296c, v176
	v_add_f32_e32 v211, v212, v211
	v_fmac_f32_e32 v201, 0xbe8c1d8e, v161
	v_add_f32_e32 v188, v190, v188
	v_fma_f32 v190, 0xbf7ba420, v180, -v191
	v_add_f32_e32 v49, v49, v53
	v_add_f32_e32 v52, v52, v55
	;; [unrolled: 1-line block ×4, first 2 shown]
	v_fma_f32 v213, 0x3dbcf732, v179, -v219
	v_add_f32_e32 v215, v217, v215
	v_fmamk_f32 v216, v166, 0x3ee437d1, v228
	v_fma_f32 v118, 0x3dbcf732, v182, -v118
	v_add_f32_e32 v201, v201, v211
	v_fmac_f32_e32 v203, 0x3f6eb680, v162
	v_add_f32_e32 v188, v190, v188
	v_fma_f32 v190, 0xbe8c1d8e, v177, -v193
	v_fmac_f32_e32 v197, 0x3ee437d1, v159
	v_add_f32_e32 v49, v51, v49
	v_add_f32_e32 v51, v54, v52
	v_add_f32_e32 v213, v213, v115
	v_add_f32_e32 v115, v216, v215
	v_add_f32_e32 v216, v100, v118
	v_fma_f32 v208, 0xbf7ba420, v181, -v208
	v_add_f32_e32 v201, v203, v201
	v_fmac_f32_e32 v206, 0x3ee437d1, v163
	v_add_f32_e32 v188, v190, v188
	v_fma_f32 v190, 0x3f3d2fb0, v178, -v194
	v_add_f32_e32 v194, v99, v197
	v_fmac_f32_e32 v185, 0xbf1a4643, v160
	v_add_f32_e32 v45, v45, v49
	v_add_f32_e32 v48, v48, v51
	v_add_f32_e32 v208, v208, v216
	v_fma_f32 v117, 0xbe8c1d8e, v180, -v117
	v_add_f32_e32 v191, v206, v201
	v_fmac_f32_e32 v207, 0xbf59a7d5, v164
	v_add_f32_e32 v185, v185, v194
	v_fmac_f32_e32 v186, 0xbf7ba420, v161
	v_add_f32_e32 v45, v47, v45
	v_add_f32_e32 v47, v50, v48
	;; [unrolled: 1-line block ×3, first 2 shown]
	v_fma_f32 v208, 0x3f6eb680, v177, -v209
	v_add_f32_e32 v193, v207, v191
	v_fmac_f32_e32 v204, 0xbf1a4643, v165
	v_add_f32_e32 v188, v190, v188
	v_fma_f32 v184, 0x3f6eb680, v179, -v184
	v_add_f32_e32 v185, v186, v185
	v_fmac_f32_e32 v189, 0xbe8c1d8e, v162
	v_add_f32_e32 v45, v41, v45
	v_add_f32_e32 v44, v44, v47
	;; [unrolled: 1-line block ×3, first 2 shown]
	v_fma_f32 v210, 0x3ee437d1, v178, -v210
	v_add_f32_e32 v193, v204, v193
	v_fmac_f32_e32 v199, 0x3f3d2fb0, v166
	v_mul_f32_e32 v197, 0x3f3d2fb0, v182
	v_add_f32_e32 v184, v184, v188
	v_fma_f32 v183, 0x3dbcf732, v170, -v183
	v_add_f32_e32 v185, v189, v185
	v_fmac_f32_e32 v192, 0x3f3d2fb0, v163
	v_add_f32_e32 v43, v43, v45
	v_add_f32_e32 v44, v46, v44
	;; [unrolled: 1-line block ×3, first 2 shown]
	v_fma_f32 v200, 0xbf59a7d5, v179, -v200
	v_add_f32_e32 v190, v199, v193
	v_fmamk_f32 v193, v157, 0x3f2c7751, v197
	v_mul_f32_e32 v194, 0x3dbcf732, v181
	v_add_f32_e32 v183, v183, v184
	v_add_f32_e32 v184, v192, v185
	v_fmac_f32_e32 v195, 0x3f6eb680, v164
	v_fma_f32 v187, 0xbf59a7d5, v175, -v187
	v_add_f32_e32 v37, v37, v43
	v_add_f32_e32 v40, v40, v44
	v_fmac_f32_e32 v231, 0xbf4c4adb, v157
	v_add_f32_e32 v200, v200, v208
	v_fma_f32 v202, 0xbf1a4643, v170, -v202
	v_add_f32_e32 v186, v100, v193
	v_fmamk_f32 v188, v154, 0x3f7ee86f, v194
	v_mul_f32_e32 v193, 0xbf1a4643, v180
	v_add_f32_e32 v192, v195, v184
	v_fmac_f32_e32 v198, 0x3dbcf732, v165
	v_add_f32_e32 v184, v187, v183
	v_mul_f32_e32 v187, 0xbf2c7751, v169
	v_add_f32_e32 v37, v39, v37
	v_add_f32_e32 v39, v42, v40
	;; [unrolled: 1-line block ×3, first 2 shown]
	v_fmac_f32_e32 v229, 0x3f763a35, v154
	v_add_f32_e32 v200, v202, v200
	v_fma_f32 v201, 0x3f3d2fb0, v175, -v205
	v_add_f32_e32 v186, v188, v186
	v_fmamk_f32 v188, v152, 0x3f4c4adb, v193
	v_mul_f32_e32 v189, 0xbf7ba420, v177
	v_add_f32_e32 v183, v198, v192
	v_fmac_f32_e32 v196, 0xbf59a7d5, v166
	v_fmamk_f32 v198, v159, 0x3f3d2fb0, v187
	v_mul_f32_e32 v199, 0xbf7ee86f, v173
	v_add_f32_e32 v33, v33, v37
	v_add_f32_e32 v36, v36, v39
	v_fma_f32 v37, 0xbf1a4643, v159, -v234
	v_add_f32_e32 v39, v229, v42
	v_fmac_f32_e32 v230, 0xbeb8f4ab, v152
	v_add_f32_e32 v191, v201, v200
	v_add_f32_e32 v185, v188, v186
	v_fmamk_f32 v186, v153, 0x3e3c28d5, v189
	v_mul_f32_e32 v188, 0xbf59a7d5, v178
	v_add_f32_e32 v183, v196, v183
	v_add_f32_e32 v196, v99, v198
	v_fmamk_f32 v198, v160, 0x3dbcf732, v199
	v_mul_f32_e32 v200, 0xbf4c4adb, v167
	v_add_f32_e32 v33, v35, v33
	v_add_f32_e32 v35, v38, v36
	;; [unrolled: 1-line block ×3, first 2 shown]
	v_fma_f32 v37, 0xbe8c1d8e, v160, -v237
	v_add_f32_e32 v38, v230, v39
	v_fmac_f32_e32 v233, 0xbf06c442, v153
	v_add_f32_e32 v185, v186, v185
	v_fmamk_f32 v186, v155, 0xbf06c442, v188
	v_mul_f32_e32 v195, 0xbe8c1d8e, v179
	v_add_f32_e32 v196, v198, v196
	v_fmamk_f32 v198, v161, 0xbf1a4643, v200
	v_mul_f32_e32 v201, 0xbe3c28d5, v168
	v_add_f32_e32 v1, v1, v33
	v_add_f32_e32 v32, v32, v35
	;; [unrolled: 1-line block ×3, first 2 shown]
	v_fma_f32 v35, 0x3f6eb680, v161, -v241
	v_add_f32_e32 v36, v233, v38
	v_fmac_f32_e32 v232, 0x3f7ee86f, v155
	v_add_f32_e32 v185, v186, v185
	v_fmamk_f32 v186, v156, 0xbf763a35, v195
	v_mul_f32_e32 v192, 0x3ee437d1, v170
	v_add_f32_e32 v196, v198, v196
	v_fmamk_f32 v198, v162, 0xbf7ba420, v201
	v_mul_f32_e32 v204, 0x3f06c442, v171
	v_add_f32_e32 v1, v3, v1
	v_add_f32_e32 v3, v34, v32
	;; [unrolled: 1-line block ×3, first 2 shown]
	v_fma_f32 v33, 0xbf59a7d5, v162, -v242
	v_add_f32_e32 v34, v232, v36
	v_fmac_f32_e32 v235, 0xbf2c7751, v156
	v_fmac_f32_e32 v197, 0xbf2c7751, v157
	v_add_f32_e32 v185, v186, v185
	v_fmamk_f32 v186, v151, 0xbf65296c, v192
	v_add_f32_e32 v196, v198, v196
	v_fmamk_f32 v198, v163, 0xbf59a7d5, v204
	v_mul_f32_e32 v206, 0x3f763a35, v172
	v_add_f32_e32 v0, v0, v3
	v_add_f32_e32 v3, v33, v32
	v_fma_f32 v32, 0x3dbcf732, v163, -v239
	v_add_f32_e32 v33, v235, v34
	v_fmac_f32_e32 v238, 0xbe3c28d5, v151
	v_add_f32_e32 v34, v100, v197
	v_fmac_f32_e32 v194, 0xbf7ee86f, v154
	v_add_f32_e32 v185, v186, v185
	v_mul_f32_e32 v186, 0x3f6eb680, v175
	v_mul_f32_e32 v207, 0x3dbcf732, v177
	v_add_f32_e32 v177, v198, v196
	v_fmamk_f32 v196, v164, 0xbe8c1d8e, v206
	v_mul_f32_e32 v198, 0x3f65296c, v174
	v_add_f32_e32 v3, v32, v3
	v_fma_f32 v32, 0x3f3d2fb0, v164, -v243
	v_add_f32_e32 v0, v2, v0
	v_add_f32_e32 v2, v238, v33
	;; [unrolled: 1-line block ×3, first 2 shown]
	v_fmac_f32_e32 v193, 0xbf4c4adb, v152
	v_fma_f32 v34, 0x3f3d2fb0, v159, -v187
	v_mul_f32_e32 v182, 0x3f6eb680, v182
	v_fmamk_f32 v202, v158, 0xbeb8f4ab, v186
	v_mul_f32_e32 v208, 0xbe8c1d8e, v178
	v_add_f32_e32 v177, v196, v177
	v_fmamk_f32 v178, v165, 0x3ee437d1, v198
	v_mul_f32_e32 v169, 0xbeb8f4ab, v169
	v_add_f32_e32 v3, v32, v3
	v_fma_f32 v32, 0xbf7ba420, v165, -v227
	v_add_f32_e32 v33, v193, v33
	v_fmac_f32_e32 v189, 0xbe3c28d5, v153
	v_add_f32_e32 v34, v99, v34
	v_fma_f32 v35, 0x3dbcf732, v160, -v199
	v_fmamk_f32 v203, v157, 0x3eb8f4ab, v182
	v_mul_f32_e32 v181, 0x3f3d2fb0, v181
	v_add_f32_e32 v177, v178, v177
	v_add_f32_e32 v178, v202, v185
	v_fmamk_f32 v185, v159, 0x3f6eb680, v169
	v_mul_f32_e32 v173, 0xbf2c7751, v173
	v_fmac_f32_e32 v240, 0x3f65296c, v158
	v_add_f32_e32 v32, v32, v3
	v_fma_f32 v36, 0x3ee437d1, v166, -v228
	v_add_f32_e32 v33, v189, v33
	v_fmac_f32_e32 v188, 0x3f06c442, v155
	v_add_f32_e32 v34, v35, v34
	v_fma_f32 v35, 0xbf1a4643, v161, -v200
	v_fmac_f32_e32 v182, 0xbeb8f4ab, v157
	v_fma_f32 v217, 0x3f6eb680, v170, -v221
	v_add_f32_e32 v203, v100, v203
	v_fmamk_f32 v205, v154, 0x3f2c7751, v181
	v_mul_f32_e32 v180, 0x3ee437d1, v180
	v_mul_f32_e32 v57, 0xbf59a7d5, v170
	v_add_f32_e32 v170, v99, v185
	v_fmamk_f32 v185, v160, 0x3f3d2fb0, v173
	v_mul_f32_e32 v56, 0xbf65296c, v167
	v_add_f32_e32 v3, v240, v2
	v_add_f32_e32 v2, v36, v32
	;; [unrolled: 1-line block ×4, first 2 shown]
	v_fma_f32 v34, 0xbf7ba420, v162, -v201
	v_fma_f32 v35, 0x3f6eb680, v159, -v169
	v_add_f32_e32 v36, v100, v182
	v_fmac_f32_e32 v181, 0xbf2c7751, v154
	v_fmac_f32_e32 v218, 0x3f3d2fb0, v161
	v_add_f32_e32 v203, v205, v203
	v_fmamk_f32 v205, v152, 0x3f65296c, v180
	v_add_f32_e32 v167, v185, v170
	v_fmamk_f32 v53, v161, 0x3ee437d1, v56
	v_mul_f32_e32 v55, 0xbf7ee86f, v168
	v_add_f32_e32 v33, v34, v33
	v_add_f32_e32 v34, v99, v35
	v_fma_f32 v35, 0x3f3d2fb0, v160, -v173
	v_add_f32_e32 v36, v181, v36
	v_fmac_f32_e32 v180, 0xbf65296c, v152
	v_add_f32_e32 v214, v218, v214
	v_fmac_f32_e32 v220, 0x3ee437d1, v162
	v_add_f32_e32 v203, v205, v203
	v_fmamk_f32 v205, v153, 0x3f7ee86f, v207
	v_add_f32_e32 v52, v53, v167
	v_fmamk_f32 v53, v162, 0x3dbcf732, v55
	v_mul_f32_e32 v54, 0xbf763a35, v171
	v_fma_f32 v37, 0xbf59a7d5, v163, -v204
	v_add_f32_e32 v34, v35, v34
	v_fma_f32 v35, 0x3ee437d1, v161, -v56
	v_add_f32_e32 v36, v180, v36
	v_fmac_f32_e32 v207, 0xbf7ee86f, v153
	v_add_f32_e32 v214, v220, v214
	v_fmac_f32_e32 v222, 0xbf7ba420, v163
	v_add_f32_e32 v203, v205, v203
	v_fmamk_f32 v205, v155, 0x3f763a35, v208
	v_mul_f32_e32 v179, 0xbf1a4643, v179
	v_add_f32_e32 v51, v53, v52
	v_fmamk_f32 v52, v163, 0xbe8c1d8e, v54
	v_mul_f32_e32 v48, 0xbf4c4adb, v172
	v_add_f32_e32 v33, v37, v33
	v_fma_f32 v37, 0xbe8c1d8e, v164, -v206
	v_add_f32_e32 v34, v35, v34
	v_fma_f32 v35, 0x3dbcf732, v162, -v55
	v_add_f32_e32 v36, v207, v36
	v_fmac_f32_e32 v208, 0xbf763a35, v155
	v_add_f32_e32 v213, v217, v213
	v_fma_f32 v215, 0xbf1a4643, v175, -v223
	v_add_f32_e32 v214, v222, v214
	v_fmac_f32_e32 v224, 0x3dbcf732, v164
	v_add_f32_e32 v203, v205, v203
	v_fmamk_f32 v205, v156, 0x3f4c4adb, v179
	v_add_f32_e32 v51, v52, v51
	v_fmamk_f32 v47, v164, 0xbf1a4643, v48
	v_mul_f32_e32 v52, 0xbf06c442, v174
	v_add_f32_e32 v33, v37, v33
	v_add_f32_e32 v34, v35, v34
	v_fma_f32 v35, 0xbe8c1d8e, v163, -v54
	v_fma_f32 v37, 0x3ee437d1, v165, -v198
	v_add_f32_e32 v36, v208, v36
	v_fmac_f32_e32 v179, 0xbf4c4adb, v156
	v_add_f32_e32 v118, v215, v213
	v_add_f32_e32 v213, v224, v214
	v_fmac_f32_e32 v225, 0x3f6eb680, v165
	v_add_f32_e32 v59, v205, v203
	v_fmamk_f32 v58, v151, 0x3f06c442, v57
	v_mul_f32_e32 v49, 0xbf7ba420, v175
	v_add_f32_e32 v45, v47, v51
	v_fmamk_f32 v46, v165, 0xbf59a7d5, v52
	v_mul_f32_e32 v47, 0xbe3c28d5, v176
	v_fmac_f32_e32 v195, 0x3f763a35, v156
	v_add_f32_e32 v34, v35, v34
	v_fma_f32 v35, 0xbf1a4643, v164, -v48
	v_add_f32_e32 v37, v37, v33
	v_add_f32_e32 v33, v179, v36
	v_mul_lo_u16 v36, v137, 17
	v_add_f32_e32 v209, v225, v213
	v_fmac_f32_e32 v226, 0xbf1a4643, v166
	v_mul_f32_e32 v196, 0x3eb8f4ab, v176
	v_add_f32_e32 v58, v58, v59
	v_fmamk_f32 v50, v158, 0x3e3c28d5, v49
	v_add_f32_e32 v43, v46, v45
	v_fmamk_f32 v44, v166, 0xbf7ba420, v47
	v_add_f32_e32 v32, v195, v32
	v_fmac_f32_e32 v192, 0x3f65296c, v151
	v_fmac_f32_e32 v57, 0xbf06c442, v151
	v_add_f32_e32 v34, v35, v34
	v_fma_f32 v35, 0xbf59a7d5, v165, -v52
	v_and_b32_e32 v36, 0xffff, v36
	v_add_f32_e32 v117, v226, v209
	v_fmamk_f32 v209, v166, 0x3f6eb680, v196
	v_add_f32_e32 v41, v50, v58
	v_add_f32_e32 v40, v44, v43
	;; [unrolled: 1-line block ×3, first 2 shown]
	v_fmac_f32_e32 v186, 0x3eb8f4ab, v158
	v_fma_f32 v38, 0x3f6eb680, v166, -v196
	v_add_f32_e32 v39, v57, v33
	v_fmac_f32_e32 v49, 0xbe3c28d5, v158
	v_add_f32_e32 v34, v35, v34
	v_fma_f32 v42, 0xbf7ba420, v166, -v47
	v_lshl_add_u32 v36, v36, 3, v139
	v_add_f32_e32 v177, v209, v177
	v_add_f32_e32 v33, v186, v32
	;; [unrolled: 1-line block ×5, first 2 shown]
	ds_write2_b64 v36, v[0:1], v[40:41] offset1:1
	ds_write2_b64 v36, v[177:178], v[183:184] offset0:2 offset1:3
	ds_write2_b64 v36, v[190:191], v[117:118] offset0:4 offset1:5
	;; [unrolled: 1-line block ×7, first 2 shown]
	ds_write_b64 v36, v[34:35] offset:128
.LBB0_13:
	s_or_b32 exec_lo, exec_lo, s0
	v_add_nc_u32_e32 v0, 0x800, v140
	v_add_nc_u32_e32 v2, 0x1000, v140
	;; [unrolled: 1-line block ×3, first 2 shown]
	s_waitcnt lgkmcnt(0)
	s_barrier
	buffer_gl0_inv
	ds_read2_b64 v[32:35], v0 offset0:16 offset1:84
	ds_read2_b64 v[36:39], v2 offset0:32 offset1:100
	ds_read2_b64 v[40:43], v1 offset0:48 offset1:116
	ds_read2_b64 v[44:47], v140 offset1:68
	ds_read2_b64 v[48:51], v140 offset0:136 offset1:204
	ds_read2_b64 v[52:55], v0 offset0:152 offset1:220
	;; [unrolled: 1-line block ×4, first 2 shown]
	s_waitcnt lgkmcnt(0)
	s_barrier
	buffer_gl0_inv
	v_mul_f32_e32 v3, v13, v33
	v_mul_f32_e32 v13, v13, v32
	;; [unrolled: 1-line block ×10, first 2 shown]
	v_fmac_f32_e32 v3, v12, v32
	v_fma_f32 v12, v12, v33, -v13
	v_fma_f32 v13, v14, v37, -v15
	v_fmac_f32_e32 v105, v16, v34
	v_fma_f32 v15, v16, v35, -v17
	v_fma_f32 v16, v18, v39, -v19
	v_mul_f32_e32 v19, v9, v53
	v_mul_f32_e32 v9, v9, v52
	v_fmac_f32_e32 v103, v14, v36
	v_fma_f32 v14, v67, v41, -v68
	v_mul_f32_e32 v32, v11, v57
	v_fmac_f32_e32 v19, v8, v52
	v_fma_f32 v33, v8, v53, -v9
	v_mul_f32_e32 v8, v11, v56
	v_mul_f32_e32 v9, v64, v99
	v_fmac_f32_e32 v32, v10, v56
	v_mul_f32_e32 v35, v5, v55
	v_mul_f32_e32 v5, v5, v54
	v_fma_f32 v36, v10, v57, -v8
	v_sub_f32_e32 v10, v45, v13
	v_sub_f32_e32 v11, v12, v14
	v_fmac_f32_e32 v106, v18, v38
	v_mul_f32_e32 v17, v66, v43
	v_mul_f32_e32 v18, v66, v42
	;; [unrolled: 1-line block ×3, first 2 shown]
	v_fma_f32 v37, v63, v100, -v9
	v_fmac_f32_e32 v35, v4, v54
	v_fma_f32 v38, v4, v55, -v5
	v_sub_f32_e32 v9, v44, v103
	v_fma_f32 v13, v45, 2.0, -v10
	v_fma_f32 v4, v12, 2.0, -v11
	v_fmac_f32_e32 v104, v67, v40
	v_fmac_f32_e32 v17, v65, v42
	v_fma_f32 v18, v65, v43, -v18
	v_fmac_f32_e32 v34, v63, v99
	v_mul_f32_e32 v39, v7, v59
	v_fma_f32 v5, v44, 2.0, -v9
	v_mul_f32_e32 v7, v7, v58
	v_mul_f32_e32 v40, v62, v102
	;; [unrolled: 1-line block ×3, first 2 shown]
	v_sub_f32_e32 v4, v13, v4
	v_sub_f32_e32 v43, v46, v106
	;; [unrolled: 1-line block ×3, first 2 shown]
	v_fmac_f32_e32 v39, v6, v58
	v_fma_f32 v41, v6, v59, -v7
	v_fmac_f32_e32 v40, v61, v101
	v_fma_f32 v42, v61, v102, -v12
	v_fma_f32 v6, v13, 2.0, -v4
	v_sub_f32_e32 v14, v105, v17
	v_sub_f32_e32 v16, v15, v18
	v_fma_f32 v13, v46, 2.0, -v43
	v_fma_f32 v18, v47, 2.0, -v44
	v_sub_f32_e32 v45, v48, v32
	v_sub_f32_e32 v46, v19, v34
	v_sub_f32_e32 v47, v49, v36
	v_sub_f32_e32 v8, v3, v104
	v_fma_f32 v12, v15, 2.0, -v16
	v_fma_f32 v34, v48, 2.0, -v45
	v_sub_f32_e32 v36, v33, v37
	v_fma_f32 v17, v19, 2.0, -v46
	v_add_f32_e32 v15, v43, v16
	v_sub_f32_e32 v16, v44, v14
	v_fma_f32 v19, v49, 2.0, -v47
	v_sub_f32_e32 v48, v50, v39
	v_sub_f32_e32 v49, v51, v41
	;; [unrolled: 1-line block ×4, first 2 shown]
	v_fma_f32 v3, v3, 2.0, -v8
	v_add_f32_e32 v7, v9, v11
	v_fma_f32 v11, v105, 2.0, -v14
	v_sub_f32_e32 v12, v18, v12
	v_fma_f32 v37, v33, 2.0, -v36
	v_fma_f32 v33, v44, 2.0, -v16
	;; [unrolled: 1-line block ×6, first 2 shown]
	v_sub_f32_e32 v3, v5, v3
	v_sub_f32_e32 v8, v10, v8
	;; [unrolled: 1-line block ×4, first 2 shown]
	v_fma_f32 v14, v18, 2.0, -v12
	v_fma_f32 v32, v43, 2.0, -v15
	v_sub_f32_e32 v18, v19, v37
	v_add_f32_e32 v36, v45, v36
	v_sub_f32_e32 v37, v47, v46
	v_sub_f32_e32 v40, v44, v40
	;; [unrolled: 1-line block ×3, first 2 shown]
	v_add_f32_e32 v42, v48, v42
	v_sub_f32_e32 v43, v49, v39
	v_fma_f32 v5, v5, 2.0, -v3
	v_fma_f32 v9, v9, 2.0, -v7
	v_fma_f32 v10, v10, 2.0, -v8
	v_fma_f32 v13, v13, 2.0, -v11
	v_fma_f32 v34, v34, 2.0, -v17
	v_fma_f32 v35, v19, 2.0, -v18
	v_fma_f32 v38, v45, 2.0, -v36
	v_fma_f32 v39, v47, 2.0, -v37
	v_fma_f32 v44, v44, 2.0, -v40
	v_fma_f32 v45, v50, 2.0, -v41
	v_fma_f32 v46, v48, 2.0, -v42
	v_fma_f32 v47, v49, 2.0, -v43
	ds_write2_b64 v145, v[5:6], v[9:10] offset1:17
	ds_write2_b64 v145, v[3:4], v[7:8] offset0:34 offset1:51
	ds_write2_b64 v144, v[13:14], v[32:33] offset1:17
	ds_write2_b64 v144, v[11:12], v[15:16] offset0:34 offset1:51
	;; [unrolled: 2-line block ×4, first 2 shown]
	s_waitcnt lgkmcnt(0)
	s_barrier
	buffer_gl0_inv
	ds_read2_b64 v[3:6], v0 offset0:16 offset1:84
	ds_read2_b64 v[7:10], v2 offset0:32 offset1:100
	;; [unrolled: 1-line block ×3, first 2 shown]
	ds_read2_b64 v[15:18], v140 offset1:68
	ds_read2_b64 v[32:35], v140 offset0:136 offset1:204
	ds_read2_b64 v[36:39], v0 offset0:152 offset1:220
	;; [unrolled: 1-line block ×4, first 2 shown]
	s_waitcnt lgkmcnt(0)
	s_barrier
	buffer_gl0_inv
	v_mul_f32_e32 v19, v29, v4
	v_mul_f32_e32 v48, v29, v3
	;; [unrolled: 1-line block ×5, first 2 shown]
	v_fmac_f32_e32 v19, v28, v3
	v_fma_f32 v3, v28, v4, -v48
	v_fmac_f32_e32 v49, v30, v7
	v_fma_f32 v4, v30, v8, -v50
	v_fmac_f32_e32 v51, v73, v11
	v_mul_f32_e32 v7, v74, v11
	v_mul_f32_e32 v8, v29, v6
	;; [unrolled: 1-line block ×5, first 2 shown]
	v_fma_f32 v7, v73, v12, -v7
	v_fmac_f32_e32 v8, v28, v5
	v_fma_f32 v11, v28, v6, -v11
	v_fmac_f32_e32 v29, v30, v9
	v_fma_f32 v9, v30, v10, -v31
	v_mul_f32_e32 v10, v74, v14
	v_mul_f32_e32 v5, v74, v13
	;; [unrolled: 1-line block ×7, first 2 shown]
	v_fmac_f32_e32 v10, v73, v13
	v_fma_f32 v13, v73, v14, -v5
	v_fmac_f32_e32 v28, v24, v36
	v_fma_f32 v14, v24, v37, -v6
	v_mul_f32_e32 v5, v27, v40
	v_mul_f32_e32 v6, v72, v44
	v_fmac_f32_e32 v25, v20, v38
	v_fma_f32 v30, v20, v39, -v21
	v_sub_f32_e32 v20, v15, v49
	v_sub_f32_e32 v21, v16, v4
	;; [unrolled: 1-line block ×4, first 2 shown]
	v_fmac_f32_e32 v12, v26, v40
	v_mul_f32_e32 v24, v72, v45
	v_fma_f32 v26, v26, v41, -v5
	v_fma_f32 v27, v71, v45, -v6
	v_mul_f32_e32 v31, v23, v43
	v_fma_f32 v5, v15, 2.0, -v20
	v_fma_f32 v6, v16, 2.0, -v21
	v_fma_f32 v4, v19, 2.0, -v36
	v_fma_f32 v15, v3, 2.0, -v7
	v_mul_f32_e32 v16, v23, v42
	v_mul_f32_e32 v19, v70, v46
	v_fmac_f32_e32 v24, v71, v44
	v_fmac_f32_e32 v31, v22, v42
	v_mul_f32_e32 v23, v70, v47
	v_sub_f32_e32 v3, v5, v4
	v_sub_f32_e32 v4, v6, v15
	v_fma_f32 v22, v22, v43, -v16
	v_fma_f32 v37, v69, v47, -v19
	v_sub_f32_e32 v19, v17, v29
	v_sub_f32_e32 v16, v8, v10
	;; [unrolled: 1-line block ×4, first 2 shown]
	v_fmac_f32_e32 v23, v69, v46
	v_add_f32_e32 v7, v20, v7
	v_fma_f32 v13, v17, 2.0, -v19
	v_fma_f32 v10, v8, 2.0, -v16
	v_sub_f32_e32 v8, v21, v36
	v_fma_f32 v18, v18, 2.0, -v29
	v_fma_f32 v17, v11, 2.0, -v15
	v_sub_f32_e32 v36, v32, v12
	v_sub_f32_e32 v24, v28, v24
	v_sub_f32_e32 v26, v33, v26
	v_sub_f32_e32 v27, v14, v27
	v_sub_f32_e32 v16, v29, v16
	v_fma_f32 v9, v20, 2.0, -v7
	v_sub_f32_e32 v11, v13, v10
	v_fma_f32 v10, v21, 2.0, -v8
	v_sub_f32_e32 v12, v18, v17
	v_fma_f32 v21, v32, 2.0, -v36
	v_fma_f32 v17, v28, 2.0, -v24
	;; [unrolled: 1-line block ×5, first 2 shown]
	v_sub_f32_e32 v33, v34, v31
	v_sub_f32_e32 v38, v35, v22
	;; [unrolled: 1-line block ×4, first 2 shown]
	v_fma_f32 v14, v18, 2.0, -v12
	v_sub_f32_e32 v18, v28, v32
	v_add_f32_e32 v23, v36, v27
	v_fma_f32 v32, v34, 2.0, -v33
	v_fma_f32 v34, v35, 2.0, -v38
	;; [unrolled: 1-line block ×4, first 2 shown]
	v_add_f32_e32 v15, v19, v15
	v_fma_f32 v5, v5, 2.0, -v3
	v_fma_f32 v6, v6, 2.0, -v4
	v_sub_f32_e32 v17, v21, v17
	v_sub_f32_e32 v24, v26, v24
	v_fma_f32 v22, v28, 2.0, -v18
	v_sub_f32_e32 v27, v32, v27
	v_sub_f32_e32 v28, v34, v30
	v_add_f32_e32 v29, v33, v29
	v_sub_f32_e32 v30, v38, v31
	v_fma_f32 v13, v13, 2.0, -v11
	v_fma_f32 v19, v19, 2.0, -v15
	;; [unrolled: 1-line block ×5, first 2 shown]
	ds_write2_b64 v140, v[5:6], v[9:10] offset1:68
	v_add_nc_u32_e32 v5, 0x1000, v147
	v_fma_f32 v31, v32, 2.0, -v27
	v_fma_f32 v32, v34, 2.0, -v28
	v_fma_f32 v33, v33, 2.0, -v29
	v_fma_f32 v34, v38, 2.0, -v30
	ds_write2_b64 v140, v[3:4], v[7:8] offset0:136 offset1:204
	v_add_nc_u32_e32 v3, 0x1800, v146
	ds_write2_b64 v0, v[13:14], v[19:20] offset0:16 offset1:84
	ds_write2_b64 v0, v[11:12], v[15:16] offset0:152 offset1:220
	;; [unrolled: 1-line block ×6, first 2 shown]
	s_waitcnt lgkmcnt(0)
	s_barrier
	buffer_gl0_inv
	ds_read2_b64 v[3:6], v2 offset0:32 offset1:100
	ds_read2_b64 v[7:10], v2 offset0:168 offset1:236
	ds_read2_b64 v[11:14], v140 offset1:68
	ds_read2_b64 v[15:18], v1 offset0:48 offset1:116
	ds_read2_b64 v[19:22], v140 offset0:136 offset1:204
	;; [unrolled: 1-line block ×5, first 2 shown]
	s_waitcnt lgkmcnt(0)
	s_barrier
	buffer_gl0_inv
	v_mul_f32_e32 v35, v82, v4
	v_mul_f32_e32 v36, v82, v3
	;; [unrolled: 1-line block ×5, first 2 shown]
	v_fmac_f32_e32 v35, v81, v3
	v_mul_f32_e32 v3, v80, v5
	v_fma_f32 v4, v81, v4, -v36
	v_mul_f32_e32 v36, v76, v8
	v_fmac_f32_e32 v37, v79, v5
	v_mul_f32_e32 v5, v82, v15
	v_fma_f32 v6, v79, v6, -v3
	v_mul_f32_e32 v3, v78, v9
	v_fmac_f32_e32 v36, v75, v7
	v_fma_f32 v38, v75, v8, -v38
	v_fmac_f32_e32 v39, v77, v9
	v_mul_f32_e32 v40, v82, v16
	v_mul_f32_e32 v41, v80, v18
	v_fma_f32 v42, v77, v10, -v3
	v_mul_f32_e32 v3, v80, v17
	v_mul_f32_e32 v7, v78, v33
	v_fma_f32 v43, v81, v16, -v5
	v_mul_f32_e32 v44, v76, v32
	v_mul_f32_e32 v5, v76, v31
	;; [unrolled: 1-line block ×3, first 2 shown]
	v_fmac_f32_e32 v40, v81, v15
	v_fmac_f32_e32 v41, v79, v17
	v_fma_f32 v45, v79, v18, -v3
	v_sub_f32_e32 v3, v11, v35
	v_fma_f32 v34, v77, v34, -v7
	v_sub_f32_e32 v4, v12, v4
	v_sub_f32_e32 v7, v13, v37
	;; [unrolled: 1-line block ×7, first 2 shown]
	v_fmac_f32_e32 v44, v75, v31
	v_fma_f32 v32, v75, v32, -v5
	v_fmac_f32_e32 v46, v77, v33
	v_fma_f32 v5, v11, 2.0, -v3
	v_fma_f32 v6, v12, 2.0, -v4
	v_fma_f32 v11, v13, 2.0, -v7
	v_fma_f32 v12, v14, 2.0, -v8
	v_fma_f32 v13, v19, 2.0, -v9
	v_fma_f32 v14, v20, 2.0, -v10
	v_sub_f32_e32 v17, v23, v40
	v_sub_f32_e32 v18, v24, v43
	v_fma_f32 v19, v21, 2.0, -v15
	v_sub_f32_e32 v21, v25, v41
	v_fma_f32 v20, v22, 2.0, -v16
	v_sub_f32_e32 v22, v26, v45
	v_sub_f32_e32 v31, v27, v44
	;; [unrolled: 1-line block ×5, first 2 shown]
	v_fma_f32 v23, v23, 2.0, -v17
	v_fma_f32 v24, v24, 2.0, -v18
	;; [unrolled: 1-line block ×8, first 2 shown]
	ds_write2_b64 v140, v[5:6], v[11:12] offset1:68
	ds_write2_b64 v0, v[3:4], v[7:8] offset0:16 offset1:84
	ds_write2_b64 v140, v[13:14], v[19:20] offset0:136 offset1:204
	;; [unrolled: 1-line block ×7, first 2 shown]
	s_waitcnt lgkmcnt(0)
	s_barrier
	buffer_gl0_inv
	ds_read2_b64 v[3:6], v2 offset0:32 offset1:100
	ds_read2_b64 v[7:10], v2 offset0:168 offset1:236
	ds_read2_b64 v[11:14], v140 offset1:68
	ds_read2_b64 v[15:18], v1 offset0:48 offset1:116
	ds_read2_b64 v[19:22], v140 offset0:136 offset1:204
	;; [unrolled: 1-line block ×5, first 2 shown]
	s_waitcnt lgkmcnt(7)
	v_mul_f32_e32 v35, v92, v3
	v_mul_f32_e32 v2, v92, v4
	;; [unrolled: 1-line block ×3, first 2 shown]
	s_waitcnt lgkmcnt(4)
	v_mul_f32_e32 v37, v88, v16
	v_mul_f32_e32 v36, v94, v10
	v_fma_f32 v1, v91, v4, -v35
	v_mul_f32_e32 v35, v98, v8
	v_mul_f32_e32 v4, v98, v7
	v_fmac_f32_e32 v2, v91, v3
	v_mul_f32_e32 v3, v84, v6
	v_mul_f32_e32 v38, v96, v18
	v_fmac_f32_e32 v35, v97, v7
	v_fma_f32 v7, v97, v8, -v4
	v_mul_f32_e32 v4, v88, v15
	v_fmac_f32_e32 v3, v83, v5
	v_fma_f32 v5, v83, v6, -v0
	v_mul_f32_e32 v0, v94, v9
	v_fmac_f32_e32 v37, v87, v15
	v_fma_f32 v15, v87, v16, -v4
	s_waitcnt lgkmcnt(0)
	v_mul_f32_e32 v40, v86, v32
	v_mul_f32_e32 v4, v86, v31
	v_fma_f32 v39, v93, v10, -v0
	v_mul_f32_e32 v0, v96, v17
	v_mul_f32_e32 v6, v90, v33
	v_fmac_f32_e32 v36, v93, v9
	v_fmac_f32_e32 v38, v95, v17
	v_mul_f32_e32 v42, v90, v34
	v_fmac_f32_e32 v40, v85, v31
	v_fma_f32 v31, v85, v32, -v4
	v_sub_f32_e32 v1, v12, v1
	v_sub_f32_e32 v4, v13, v3
	v_fma_f32 v41, v95, v18, -v0
	v_sub_f32_e32 v0, v11, v2
	v_fma_f32 v32, v89, v34, -v6
	v_sub_f32_e32 v5, v14, v5
	v_sub_f32_e32 v6, v19, v35
	v_fmac_f32_e32 v42, v89, v33
	v_fma_f32 v3, v12, 2.0, -v1
	v_fma_f32 v8, v13, 2.0, -v4
	v_sub_f32_e32 v12, v21, v36
	v_sub_f32_e32 v13, v22, v39
	;; [unrolled: 1-line block ×5, first 2 shown]
	v_fma_f32 v2, v11, 2.0, -v0
	v_fma_f32 v9, v14, 2.0, -v5
	;; [unrolled: 1-line block ×3, first 2 shown]
	v_sub_f32_e32 v14, v23, v37
	v_sub_f32_e32 v19, v26, v41
	v_fma_f32 v16, v21, 2.0, -v12
	v_fma_f32 v17, v22, 2.0, -v13
	;; [unrolled: 1-line block ×4, first 2 shown]
	v_sub_f32_e32 v24, v27, v40
	v_sub_f32_e32 v25, v28, v31
	v_sub_f32_e32 v31, v29, v42
	v_sub_f32_e32 v32, v30, v32
	v_add_nc_u32_e32 v33, 0x1000, v148
	v_fma_f32 v11, v20, 2.0, -v7
	v_fma_f32 v20, v23, 2.0, -v14
	;; [unrolled: 1-line block ×3, first 2 shown]
	ds_write2_b64 v148, v[2:3], v[8:9] offset1:68
	v_add_nc_u32_e32 v2, 0x800, v148
	v_add_nc_u32_e32 v3, 0x1800, v148
	v_fma_f32 v26, v27, 2.0, -v24
	v_fma_f32 v27, v28, 2.0, -v25
	;; [unrolled: 1-line block ×4, first 2 shown]
	ds_write2_b64 v33, v[0:1], v[4:5] offset0:32 offset1:100
	ds_write2_b64 v148, v[10:11], v[16:17] offset0:136 offset1:204
	;; [unrolled: 1-line block ×5, first 2 shown]
	ds_write_b64 v148, v[26:27] offset:3264
	ds_write_b64 v150, v[24:25] offset:4352
	;; [unrolled: 1-line block ×4, first 2 shown]
	s_waitcnt lgkmcnt(0)
	s_barrier
	buffer_gl0_inv
	s_and_b32 exec_lo, exec_lo, vcc_lo
	s_cbranch_execz .LBB0_15
; %bb.14:
	global_load_dwordx2 v[0:1], v133, s[12:13]
	ds_read_b64 v[2:3], v138
	s_mov_b32 s0, 0x1e1e1e1e
	s_mov_b32 s1, 0x3f4e1e1e
	v_mad_u64_u32 v[6:7], null, s4, v137, 0
	s_waitcnt vmcnt(0) lgkmcnt(0)
	v_mul_f32_e32 v4, v3, v1
	v_mul_f32_e32 v1, v2, v1
	v_fmac_f32_e32 v4, v2, v0
	v_fma_f32 v2, v0, v3, -v1
	v_cvt_f64_f32_e32 v[0:1], v4
	v_cvt_f64_f32_e32 v[2:3], v2
	v_mad_u64_u32 v[4:5], null, s6, v60, 0
	v_mad_u64_u32 v[8:9], null, s7, v60, v[5:6]
	;; [unrolled: 1-line block ×3, first 2 shown]
	v_mov_b32_e32 v5, v8
	v_mul_f64 v[0:1], v[0:1], s[0:1]
	v_mul_f64 v[2:3], v[2:3], s[0:1]
	v_mov_b32_e32 v7, v9
	v_cvt_f32_f64_e32 v10, v[0:1]
	v_cvt_f32_f64_e32 v11, v[2:3]
	v_lshlrev_b64 v[0:1], 3, v[4:5]
	v_lshlrev_b64 v[2:3], 3, v[6:7]
	v_add_co_u32 v0, vcc_lo, s14, v0
	v_add_co_ci_u32_e32 v1, vcc_lo, s15, v1, vcc_lo
	v_add_co_u32 v2, vcc_lo, v0, v2
	v_add_co_ci_u32_e32 v3, vcc_lo, v1, v3, vcc_lo
	global_store_dwordx2 v[2:3], v[10:11], off
	global_load_dwordx2 v[11:12], v133, s[12:13] offset:512
	v_lshl_add_u32 v2, v136, 3, v141
	ds_read2st64_b64 v[3:6], v2 offset0:1 offset1:2
	ds_read2st64_b64 v[7:10], v2 offset0:3 offset1:4
	s_waitcnt vmcnt(0) lgkmcnt(1)
	v_mul_f32_e32 v13, v4, v12
	v_mul_f32_e32 v12, v3, v12
	v_fmac_f32_e32 v13, v3, v11
	v_fma_f32 v11, v11, v4, -v12
	v_cvt_f64_f32_e32 v[3:4], v13
	v_cvt_f64_f32_e32 v[11:12], v11
	v_mad_u64_u32 v[13:14], null, s4, v135, 0
	v_mad_u64_u32 v[14:15], null, s5, v135, v[14:15]
	v_mul_f64 v[3:4], v[3:4], s[0:1]
	v_mul_f64 v[11:12], v[11:12], s[0:1]
	v_cvt_f32_f64_e32 v3, v[3:4]
	v_cvt_f32_f64_e32 v4, v[11:12]
	v_lshlrev_b64 v[11:12], 3, v[13:14]
	v_add_co_u32 v11, vcc_lo, v0, v11
	v_add_co_ci_u32_e32 v12, vcc_lo, v1, v12, vcc_lo
	global_store_dwordx2 v[11:12], v[3:4], off
	global_load_dwordx2 v[3:4], v133, s[12:13] offset:1024
	s_waitcnt vmcnt(0)
	v_mul_f32_e32 v11, v6, v4
	v_mul_f32_e32 v4, v5, v4
	v_fmac_f32_e32 v11, v5, v3
	v_fma_f32 v5, v3, v6, -v4
	v_cvt_f64_f32_e32 v[3:4], v11
	v_cvt_f64_f32_e32 v[5:6], v5
	v_mad_u64_u32 v[11:12], null, s4, v134, 0
	v_mad_u64_u32 v[12:13], null, s5, v134, v[12:13]
	v_mul_f64 v[3:4], v[3:4], s[0:1]
	v_mul_f64 v[5:6], v[5:6], s[0:1]
	v_cvt_f32_f64_e32 v3, v[3:4]
	v_cvt_f32_f64_e32 v4, v[5:6]
	v_lshlrev_b64 v[5:6], 3, v[11:12]
	v_add_co_u32 v5, vcc_lo, v0, v5
	v_add_co_ci_u32_e32 v6, vcc_lo, v1, v6, vcc_lo
	global_store_dwordx2 v[5:6], v[3:4], off
	global_load_dwordx2 v[3:4], v133, s[12:13] offset:1536
	s_waitcnt vmcnt(0) lgkmcnt(0)
	v_mul_f32_e32 v5, v8, v4
	v_mul_f32_e32 v4, v7, v4
	v_fmac_f32_e32 v5, v7, v3
	v_fma_f32 v6, v3, v8, -v4
	v_mad_u64_u32 v[7:8], null, s4, v132, 0
	v_cvt_f64_f32_e32 v[3:4], v5
	v_cvt_f64_f32_e32 v[5:6], v6
	v_mad_u64_u32 v[11:12], null, s5, v132, v[8:9]
	v_mov_b32_e32 v8, v11
	v_mul_f64 v[3:4], v[3:4], s[0:1]
	v_mul_f64 v[5:6], v[5:6], s[0:1]
	v_cvt_f32_f64_e32 v3, v[3:4]
	v_cvt_f32_f64_e32 v4, v[5:6]
	v_lshlrev_b64 v[5:6], 3, v[7:8]
	v_lshlrev_b32_e32 v7, 3, v131
	v_add_co_u32 v5, vcc_lo, v0, v5
	v_add_co_ci_u32_e32 v6, vcc_lo, v1, v6, vcc_lo
	global_store_dwordx2 v[5:6], v[3:4], off
	global_load_dwordx2 v[3:4], v7, s[12:13]
	v_mad_u64_u32 v[7:8], null, s4, v131, 0
	s_waitcnt vmcnt(0)
	v_mul_f32_e32 v5, v10, v4
	v_mul_f32_e32 v4, v9, v4
	v_fmac_f32_e32 v5, v9, v3
	v_fma_f32 v6, v3, v10, -v4
	v_mad_u64_u32 v[8:9], null, s5, v131, v[8:9]
	v_cvt_f64_f32_e32 v[3:4], v5
	v_cvt_f64_f32_e32 v[5:6], v6
	v_mul_f64 v[3:4], v[3:4], s[0:1]
	v_mul_f64 v[5:6], v[5:6], s[0:1]
	v_cvt_f32_f64_e32 v3, v[3:4]
	v_cvt_f32_f64_e32 v4, v[5:6]
	v_lshlrev_b64 v[5:6], 3, v[7:8]
	v_lshlrev_b32_e32 v7, 3, v130
	v_add_co_u32 v5, vcc_lo, v0, v5
	v_add_co_ci_u32_e32 v6, vcc_lo, v1, v6, vcc_lo
	global_store_dwordx2 v[5:6], v[3:4], off
	global_load_dwordx2 v[11:12], v7, s[12:13]
	ds_read2st64_b64 v[3:6], v2 offset0:5 offset1:6
	ds_read2st64_b64 v[7:10], v2 offset0:7 offset1:8
	s_waitcnt vmcnt(0) lgkmcnt(1)
	v_mul_f32_e32 v13, v4, v12
	v_mul_f32_e32 v12, v3, v12
	v_fmac_f32_e32 v13, v3, v11
	v_fma_f32 v11, v11, v4, -v12
	v_cvt_f64_f32_e32 v[3:4], v13
	v_cvt_f64_f32_e32 v[11:12], v11
	v_mad_u64_u32 v[13:14], null, s4, v130, 0
	v_mad_u64_u32 v[14:15], null, s5, v130, v[14:15]
	v_mul_f64 v[3:4], v[3:4], s[0:1]
	v_mul_f64 v[11:12], v[11:12], s[0:1]
	v_cvt_f32_f64_e32 v3, v[3:4]
	v_cvt_f32_f64_e32 v4, v[11:12]
	v_lshlrev_b64 v[11:12], 3, v[13:14]
	v_lshlrev_b32_e32 v13, 3, v129
	v_add_co_u32 v11, vcc_lo, v0, v11
	v_add_co_ci_u32_e32 v12, vcc_lo, v1, v12, vcc_lo
	global_store_dwordx2 v[11:12], v[3:4], off
	global_load_dwordx2 v[3:4], v13, s[12:13]
	s_waitcnt vmcnt(0)
	v_mul_f32_e32 v11, v6, v4
	v_mul_f32_e32 v4, v5, v4
	v_fmac_f32_e32 v11, v5, v3
	v_fma_f32 v5, v3, v6, -v4
	v_cvt_f64_f32_e32 v[3:4], v11
	v_cvt_f64_f32_e32 v[5:6], v5
	v_mad_u64_u32 v[11:12], null, s4, v129, 0
	v_mad_u64_u32 v[12:13], null, s5, v129, v[12:13]
	v_mul_f64 v[3:4], v[3:4], s[0:1]
	v_mul_f64 v[5:6], v[5:6], s[0:1]
	v_cvt_f32_f64_e32 v3, v[3:4]
	v_cvt_f32_f64_e32 v4, v[5:6]
	v_lshlrev_b64 v[5:6], 3, v[11:12]
	v_lshlrev_b32_e32 v11, 3, v128
	v_add_co_u32 v5, vcc_lo, v0, v5
	v_add_co_ci_u32_e32 v6, vcc_lo, v1, v6, vcc_lo
	global_store_dwordx2 v[5:6], v[3:4], off
	global_load_dwordx2 v[3:4], v11, s[12:13]
	s_waitcnt vmcnt(0) lgkmcnt(0)
	v_mul_f32_e32 v5, v8, v4
	v_mul_f32_e32 v4, v7, v4
	v_fmac_f32_e32 v5, v7, v3
	v_fma_f32 v6, v3, v8, -v4
	v_mad_u64_u32 v[7:8], null, s4, v128, 0
	v_cvt_f64_f32_e32 v[3:4], v5
	v_cvt_f64_f32_e32 v[5:6], v6
	v_mad_u64_u32 v[11:12], null, s5, v128, v[8:9]
	v_mov_b32_e32 v8, v11
	v_mul_f64 v[3:4], v[3:4], s[0:1]
	v_mul_f64 v[5:6], v[5:6], s[0:1]
	v_cvt_f32_f64_e32 v3, v[3:4]
	v_cvt_f32_f64_e32 v4, v[5:6]
	v_lshlrev_b64 v[5:6], 3, v[7:8]
	v_lshlrev_b32_e32 v7, 3, v127
	v_add_co_u32 v5, vcc_lo, v0, v5
	v_add_co_ci_u32_e32 v6, vcc_lo, v1, v6, vcc_lo
	global_store_dwordx2 v[5:6], v[3:4], off
	global_load_dwordx2 v[3:4], v7, s[12:13]
	v_mad_u64_u32 v[7:8], null, s4, v127, 0
	s_waitcnt vmcnt(0)
	v_mul_f32_e32 v5, v10, v4
	v_mul_f32_e32 v4, v9, v4
	v_fmac_f32_e32 v5, v9, v3
	v_fma_f32 v6, v3, v10, -v4
	v_mad_u64_u32 v[8:9], null, s5, v127, v[8:9]
	v_cvt_f64_f32_e32 v[3:4], v5
	v_cvt_f64_f32_e32 v[5:6], v6
	v_mul_f64 v[3:4], v[3:4], s[0:1]
	v_mul_f64 v[5:6], v[5:6], s[0:1]
	v_cvt_f32_f64_e32 v3, v[3:4]
	v_cvt_f32_f64_e32 v4, v[5:6]
	v_lshlrev_b64 v[5:6], 3, v[7:8]
	v_lshlrev_b32_e32 v7, 3, v126
	v_add_co_u32 v5, vcc_lo, v0, v5
	v_add_co_ci_u32_e32 v6, vcc_lo, v1, v6, vcc_lo
	global_store_dwordx2 v[5:6], v[3:4], off
	global_load_dwordx2 v[11:12], v7, s[12:13]
	ds_read2st64_b64 v[3:6], v2 offset0:9 offset1:10
	ds_read2st64_b64 v[7:10], v2 offset0:11 offset1:12
	s_waitcnt vmcnt(0) lgkmcnt(1)
	v_mul_f32_e32 v13, v4, v12
	v_mul_f32_e32 v12, v3, v12
	v_fmac_f32_e32 v13, v3, v11
	v_fma_f32 v11, v11, v4, -v12
	v_cvt_f64_f32_e32 v[3:4], v13
	v_cvt_f64_f32_e32 v[11:12], v11
	v_mad_u64_u32 v[13:14], null, s4, v126, 0
	v_mad_u64_u32 v[14:15], null, s5, v126, v[14:15]
	v_mul_f64 v[3:4], v[3:4], s[0:1]
	v_mul_f64 v[11:12], v[11:12], s[0:1]
	v_cvt_f32_f64_e32 v3, v[3:4]
	v_cvt_f32_f64_e32 v4, v[11:12]
	v_lshlrev_b64 v[11:12], 3, v[13:14]
	v_lshlrev_b32_e32 v13, 3, v125
	v_add_co_u32 v11, vcc_lo, v0, v11
	v_add_co_ci_u32_e32 v12, vcc_lo, v1, v12, vcc_lo
	global_store_dwordx2 v[11:12], v[3:4], off
	global_load_dwordx2 v[3:4], v13, s[12:13]
	s_waitcnt vmcnt(0)
	v_mul_f32_e32 v11, v6, v4
	v_mul_f32_e32 v4, v5, v4
	v_fmac_f32_e32 v11, v5, v3
	v_fma_f32 v5, v3, v6, -v4
	v_cvt_f64_f32_e32 v[3:4], v11
	v_cvt_f64_f32_e32 v[5:6], v5
	v_mad_u64_u32 v[11:12], null, s4, v125, 0
	v_mad_u64_u32 v[12:13], null, s5, v125, v[12:13]
	;; [unrolled: 1-line block ×3, first 2 shown]
	v_mul_f64 v[3:4], v[3:4], s[0:1]
	v_mul_f64 v[5:6], v[5:6], s[0:1]
	v_cvt_f32_f64_e32 v3, v[3:4]
	v_cvt_f32_f64_e32 v4, v[5:6]
	v_lshlrev_b64 v[5:6], 3, v[11:12]
	v_lshlrev_b32_e32 v11, 3, v124
	v_add_co_u32 v5, vcc_lo, v0, v5
	v_add_co_ci_u32_e32 v6, vcc_lo, v1, v6, vcc_lo
	global_store_dwordx2 v[5:6], v[3:4], off
	global_load_dwordx2 v[3:4], v11, s[12:13]
	s_waitcnt vmcnt(0) lgkmcnt(0)
	v_mul_f32_e32 v5, v8, v4
	v_mul_f32_e32 v4, v7, v4
	v_fmac_f32_e32 v5, v7, v3
	v_fma_f32 v6, v3, v8, -v4
	v_mad_u64_u32 v[7:8], null, s4, v124, 0
	v_cvt_f64_f32_e32 v[3:4], v5
	v_cvt_f64_f32_e32 v[5:6], v6
	v_mad_u64_u32 v[11:12], null, s5, v124, v[8:9]
	v_mov_b32_e32 v8, v11
	v_mul_f64 v[3:4], v[3:4], s[0:1]
	v_mul_f64 v[5:6], v[5:6], s[0:1]
	v_cvt_f32_f64_e32 v3, v[3:4]
	v_cvt_f32_f64_e32 v4, v[5:6]
	v_lshlrev_b64 v[5:6], 3, v[7:8]
	v_lshlrev_b32_e32 v7, 3, v123
	v_add_co_u32 v5, vcc_lo, v0, v5
	v_add_co_ci_u32_e32 v6, vcc_lo, v1, v6, vcc_lo
	global_store_dwordx2 v[5:6], v[3:4], off
	global_load_dwordx2 v[3:4], v7, s[12:13]
	v_mad_u64_u32 v[7:8], null, s4, v123, 0
	s_waitcnt vmcnt(0)
	v_mul_f32_e32 v5, v10, v4
	v_mul_f32_e32 v4, v9, v4
	v_fmac_f32_e32 v5, v9, v3
	v_fma_f32 v6, v3, v10, -v4
	v_mad_u64_u32 v[8:9], null, s5, v123, v[8:9]
	v_cvt_f64_f32_e32 v[3:4], v5
	v_cvt_f64_f32_e32 v[5:6], v6
	v_mul_f64 v[3:4], v[3:4], s[0:1]
	v_mul_f64 v[5:6], v[5:6], s[0:1]
	v_cvt_f32_f64_e32 v3, v[3:4]
	v_cvt_f32_f64_e32 v4, v[5:6]
	v_lshlrev_b64 v[5:6], 3, v[7:8]
	v_lshlrev_b32_e32 v7, 3, v122
	v_add_co_u32 v5, vcc_lo, v0, v5
	v_add_co_ci_u32_e32 v6, vcc_lo, v1, v6, vcc_lo
	global_store_dwordx2 v[5:6], v[3:4], off
	global_load_dwordx2 v[11:12], v7, s[12:13]
	ds_read2st64_b64 v[3:6], v2 offset0:13 offset1:14
	ds_read2st64_b64 v[7:10], v2 offset0:15 offset1:16
	s_waitcnt vmcnt(0) lgkmcnt(1)
	v_mul_f32_e32 v2, v4, v12
	v_mul_f32_e32 v12, v3, v12
	v_fmac_f32_e32 v2, v3, v11
	v_fma_f32 v4, v11, v4, -v12
	v_cvt_f64_f32_e32 v[2:3], v2
	v_cvt_f64_f32_e32 v[11:12], v4
	v_mov_b32_e32 v4, v14
	v_mad_u64_u32 v[14:15], null, s5, v122, v[4:5]
	v_lshlrev_b32_e32 v4, 3, v121
	v_mul_f64 v[2:3], v[2:3], s[0:1]
	v_mul_f64 v[11:12], v[11:12], s[0:1]
	v_cvt_f32_f64_e32 v2, v[2:3]
	v_cvt_f32_f64_e32 v3, v[11:12]
	v_lshlrev_b64 v[11:12], 3, v[13:14]
	v_add_co_u32 v11, vcc_lo, v0, v11
	v_add_co_ci_u32_e32 v12, vcc_lo, v1, v12, vcc_lo
	global_store_dwordx2 v[11:12], v[2:3], off
	global_load_dwordx2 v[2:3], v4, s[12:13]
	v_mad_u64_u32 v[11:12], null, s4, v121, 0
	s_waitcnt vmcnt(0)
	v_mul_f32_e32 v4, v6, v3
	v_mul_f32_e32 v3, v5, v3
	v_fmac_f32_e32 v4, v5, v2
	v_fma_f32 v5, v2, v6, -v3
	v_mov_b32_e32 v6, v12
	v_cvt_f64_f32_e32 v[2:3], v4
	v_cvt_f64_f32_e32 v[4:5], v5
	s_waitcnt lgkmcnt(0)
	v_mad_u64_u32 v[12:13], null, s5, v121, v[6:7]
	v_lshlrev_b32_e32 v6, 3, v120
	v_mul_f64 v[2:3], v[2:3], s[0:1]
	v_mul_f64 v[4:5], v[4:5], s[0:1]
	v_cvt_f32_f64_e32 v2, v[2:3]
	v_cvt_f32_f64_e32 v3, v[4:5]
	v_lshlrev_b64 v[4:5], 3, v[11:12]
	v_add_co_u32 v4, vcc_lo, v0, v4
	v_add_co_ci_u32_e32 v5, vcc_lo, v1, v5, vcc_lo
	global_store_dwordx2 v[4:5], v[2:3], off
	global_load_dwordx2 v[2:3], v6, s[12:13]
	s_waitcnt vmcnt(0)
	v_mul_f32_e32 v4, v8, v3
	v_mul_f32_e32 v3, v7, v3
	v_fmac_f32_e32 v4, v7, v2
	v_fma_f32 v5, v2, v8, -v3
	v_mad_u64_u32 v[6:7], null, s4, v120, 0
	v_cvt_f64_f32_e32 v[2:3], v4
	v_cvt_f64_f32_e32 v[4:5], v5
	v_mad_u64_u32 v[7:8], null, s5, v120, v[7:8]
                                        ; kill: def $vgpr8 killed $sgpr0 killed $exec
	v_mul_f64 v[2:3], v[2:3], s[0:1]
	v_mul_f64 v[4:5], v[4:5], s[0:1]
	v_cvt_f32_f64_e32 v2, v[2:3]
	v_cvt_f32_f64_e32 v3, v[4:5]
	v_lshlrev_b64 v[4:5], 3, v[6:7]
	v_lshlrev_b32_e32 v6, 3, v119
	v_add_co_u32 v4, vcc_lo, v0, v4
	v_add_co_ci_u32_e32 v5, vcc_lo, v1, v5, vcc_lo
	global_store_dwordx2 v[4:5], v[2:3], off
	global_load_dwordx2 v[2:3], v6, s[12:13]
	v_mad_u64_u32 v[6:7], null, s4, v119, 0
	v_mad_u64_u32 v[7:8], null, s5, v119, v[7:8]
	s_waitcnt vmcnt(0)
	v_mul_f32_e32 v4, v10, v3
	v_mul_f32_e32 v3, v9, v3
	v_fmac_f32_e32 v4, v9, v2
	v_fma_f32 v5, v2, v10, -v3
	v_cvt_f64_f32_e32 v[2:3], v4
	v_cvt_f64_f32_e32 v[4:5], v5
	v_mul_f64 v[2:3], v[2:3], s[0:1]
	v_mul_f64 v[4:5], v[4:5], s[0:1]
	v_cvt_f32_f64_e32 v2, v[2:3]
	v_cvt_f32_f64_e32 v3, v[4:5]
	v_lshlrev_b64 v[4:5], 3, v[6:7]
	v_add_co_u32 v0, vcc_lo, v0, v4
	v_add_co_ci_u32_e32 v1, vcc_lo, v1, v5, vcc_lo
	global_store_dwordx2 v[0:1], v[2:3], off
.LBB0_15:
	s_endpgm
	.section	.rodata,"a",@progbits
	.p2align	6, 0x0
	.amdhsa_kernel bluestein_single_back_len1088_dim1_sp_op_CI_CI
		.amdhsa_group_segment_fixed_size 26112
		.amdhsa_private_segment_fixed_size 0
		.amdhsa_kernarg_size 104
		.amdhsa_user_sgpr_count 6
		.amdhsa_user_sgpr_private_segment_buffer 1
		.amdhsa_user_sgpr_dispatch_ptr 0
		.amdhsa_user_sgpr_queue_ptr 0
		.amdhsa_user_sgpr_kernarg_segment_ptr 1
		.amdhsa_user_sgpr_dispatch_id 0
		.amdhsa_user_sgpr_flat_scratch_init 0
		.amdhsa_user_sgpr_private_segment_size 0
		.amdhsa_wavefront_size32 1
		.amdhsa_uses_dynamic_stack 0
		.amdhsa_system_sgpr_private_segment_wavefront_offset 0
		.amdhsa_system_sgpr_workgroup_id_x 1
		.amdhsa_system_sgpr_workgroup_id_y 0
		.amdhsa_system_sgpr_workgroup_id_z 0
		.amdhsa_system_sgpr_workgroup_info 0
		.amdhsa_system_vgpr_workitem_id 0
		.amdhsa_next_free_vgpr 256
		.amdhsa_next_free_sgpr 16
		.amdhsa_reserve_vcc 1
		.amdhsa_reserve_flat_scratch 0
		.amdhsa_float_round_mode_32 0
		.amdhsa_float_round_mode_16_64 0
		.amdhsa_float_denorm_mode_32 3
		.amdhsa_float_denorm_mode_16_64 3
		.amdhsa_dx10_clamp 1
		.amdhsa_ieee_mode 1
		.amdhsa_fp16_overflow 0
		.amdhsa_workgroup_processor_mode 1
		.amdhsa_memory_ordered 1
		.amdhsa_forward_progress 0
		.amdhsa_shared_vgpr_count 0
		.amdhsa_exception_fp_ieee_invalid_op 0
		.amdhsa_exception_fp_denorm_src 0
		.amdhsa_exception_fp_ieee_div_zero 0
		.amdhsa_exception_fp_ieee_overflow 0
		.amdhsa_exception_fp_ieee_underflow 0
		.amdhsa_exception_fp_ieee_inexact 0
		.amdhsa_exception_int_div_zero 0
	.end_amdhsa_kernel
	.text
.Lfunc_end0:
	.size	bluestein_single_back_len1088_dim1_sp_op_CI_CI, .Lfunc_end0-bluestein_single_back_len1088_dim1_sp_op_CI_CI
                                        ; -- End function
	.section	.AMDGPU.csdata,"",@progbits
; Kernel info:
; codeLenInByte = 21088
; NumSgprs: 18
; NumVgprs: 256
; ScratchSize: 0
; MemoryBound: 0
; FloatMode: 240
; IeeeMode: 1
; LDSByteSize: 26112 bytes/workgroup (compile time only)
; SGPRBlocks: 2
; VGPRBlocks: 31
; NumSGPRsForWavesPerEU: 18
; NumVGPRsForWavesPerEU: 256
; Occupancy: 4
; WaveLimiterHint : 1
; COMPUTE_PGM_RSRC2:SCRATCH_EN: 0
; COMPUTE_PGM_RSRC2:USER_SGPR: 6
; COMPUTE_PGM_RSRC2:TRAP_HANDLER: 0
; COMPUTE_PGM_RSRC2:TGID_X_EN: 1
; COMPUTE_PGM_RSRC2:TGID_Y_EN: 0
; COMPUTE_PGM_RSRC2:TGID_Z_EN: 0
; COMPUTE_PGM_RSRC2:TIDIG_COMP_CNT: 0
	.text
	.p2alignl 6, 3214868480
	.fill 48, 4, 3214868480
	.type	__hip_cuid_d41c8b1e14d25d13,@object ; @__hip_cuid_d41c8b1e14d25d13
	.section	.bss,"aw",@nobits
	.globl	__hip_cuid_d41c8b1e14d25d13
__hip_cuid_d41c8b1e14d25d13:
	.byte	0                               ; 0x0
	.size	__hip_cuid_d41c8b1e14d25d13, 1

	.ident	"AMD clang version 19.0.0git (https://github.com/RadeonOpenCompute/llvm-project roc-6.4.0 25133 c7fe45cf4b819c5991fe208aaa96edf142730f1d)"
	.section	".note.GNU-stack","",@progbits
	.addrsig
	.addrsig_sym __hip_cuid_d41c8b1e14d25d13
	.amdgpu_metadata
---
amdhsa.kernels:
  - .args:
      - .actual_access:  read_only
        .address_space:  global
        .offset:         0
        .size:           8
        .value_kind:     global_buffer
      - .actual_access:  read_only
        .address_space:  global
        .offset:         8
        .size:           8
        .value_kind:     global_buffer
      - .actual_access:  read_only
        .address_space:  global
        .offset:         16
        .size:           8
        .value_kind:     global_buffer
      - .actual_access:  read_only
        .address_space:  global
        .offset:         24
        .size:           8
        .value_kind:     global_buffer
      - .actual_access:  read_only
        .address_space:  global
        .offset:         32
        .size:           8
        .value_kind:     global_buffer
      - .offset:         40
        .size:           8
        .value_kind:     by_value
      - .address_space:  global
        .offset:         48
        .size:           8
        .value_kind:     global_buffer
      - .address_space:  global
        .offset:         56
        .size:           8
        .value_kind:     global_buffer
      - .address_space:  global
        .offset:         64
        .size:           8
        .value_kind:     global_buffer
      - .address_space:  global
        .offset:         72
        .size:           8
        .value_kind:     global_buffer
      - .offset:         80
        .size:           4
        .value_kind:     by_value
      - .address_space:  global
        .offset:         88
        .size:           8
        .value_kind:     global_buffer
      - .address_space:  global
        .offset:         96
        .size:           8
        .value_kind:     global_buffer
    .group_segment_fixed_size: 26112
    .kernarg_segment_align: 8
    .kernarg_segment_size: 104
    .language:       OpenCL C
    .language_version:
      - 2
      - 0
    .max_flat_workgroup_size: 204
    .name:           bluestein_single_back_len1088_dim1_sp_op_CI_CI
    .private_segment_fixed_size: 0
    .sgpr_count:     18
    .sgpr_spill_count: 0
    .symbol:         bluestein_single_back_len1088_dim1_sp_op_CI_CI.kd
    .uniform_work_group_size: 1
    .uses_dynamic_stack: false
    .vgpr_count:     256
    .vgpr_spill_count: 0
    .wavefront_size: 32
    .workgroup_processor_mode: 1
amdhsa.target:   amdgcn-amd-amdhsa--gfx1030
amdhsa.version:
  - 1
  - 2
...

	.end_amdgpu_metadata
